;; amdgpu-corpus repo=zjin-lcf/HeCBench kind=compiled arch=gfx1100 opt=O3
	.text
	.amdgcn_target "amdgcn-amd-amdhsa--gfx1100"
	.amdhsa_code_object_version 6
	.protected	_Z6init_xPfii           ; -- Begin function _Z6init_xPfii
	.globl	_Z6init_xPfii
	.p2align	8
	.type	_Z6init_xPfii,@function
_Z6init_xPfii:                          ; @_Z6init_xPfii
; %bb.0:
	s_clause 0x1
	s_load_b32 s4, s[0:1], 0x1c
	s_load_b64 s[2:3], s[0:1], 0x8
	s_waitcnt lgkmcnt(0)
	s_and_b32 s4, s4, 0xffff
	s_mul_i32 s2, s3, s2
	v_mad_u64_u32 v[1:2], null, s15, s4, v[0:1]
	s_delay_alu instid0(VALU_DEP_1)
	v_cmp_gt_i32_e32 vcc_lo, s2, v1
	s_and_saveexec_b32 s2, vcc_lo
	s_cbranch_execz .LBB0_2
; %bb.1:
	s_abs_i32 s2, s3
	v_sub_nc_u32_e32 v3, 0, v1
	v_cvt_f32_u32_e32 v0, s2
	s_sub_i32 s3, 0, s2
	s_load_b64 s[0:1], s[0:1], 0x0
	s_delay_alu instid0(VALU_DEP_2) | instskip(NEXT) | instid1(VALU_DEP_2)
	v_max_i32_e32 v3, v1, v3
	v_rcp_iflag_f32_e32 v0, v0
	s_waitcnt_depctr 0xfff
	v_mul_f32_e32 v0, 0x4f7ffffe, v0
	s_delay_alu instid0(VALU_DEP_1) | instskip(NEXT) | instid1(VALU_DEP_1)
	v_cvt_u32_f32_e32 v0, v0
	v_mul_lo_u32 v2, s3, v0
	s_delay_alu instid0(VALU_DEP_1) | instskip(NEXT) | instid1(VALU_DEP_1)
	v_mul_hi_u32 v2, v0, v2
	v_add_nc_u32_e32 v0, v0, v2
	s_delay_alu instid0(VALU_DEP_1) | instskip(NEXT) | instid1(VALU_DEP_1)
	v_mul_hi_u32 v0, v3, v0
	v_mul_lo_u32 v0, v0, s2
	s_delay_alu instid0(VALU_DEP_1) | instskip(NEXT) | instid1(VALU_DEP_1)
	v_sub_nc_u32_e32 v0, v3, v0
	v_subrev_nc_u32_e32 v2, s2, v0
	v_cmp_le_u32_e32 vcc_lo, s2, v0
	s_delay_alu instid0(VALU_DEP_2) | instskip(SKIP_1) | instid1(VALU_DEP_2)
	v_cndmask_b32_e32 v0, v0, v2, vcc_lo
	v_ashrrev_i32_e32 v2, 31, v1
	v_subrev_nc_u32_e32 v3, s2, v0
	v_cmp_le_u32_e32 vcc_lo, s2, v0
	s_delay_alu instid0(VALU_DEP_2) | instskip(NEXT) | instid1(VALU_DEP_1)
	v_cndmask_b32_e32 v0, v0, v3, vcc_lo
	v_xor_b32_e32 v3, v0, v2
	v_lshlrev_b64 v[0:1], 2, v[1:2]
	s_delay_alu instid0(VALU_DEP_2) | instskip(SKIP_1) | instid1(VALU_DEP_2)
	v_sub_nc_u32_e32 v2, v3, v2
	s_waitcnt lgkmcnt(0)
	v_add_co_u32 v0, vcc_lo, s0, v0
	s_delay_alu instid0(VALU_DEP_3) | instskip(NEXT) | instid1(VALU_DEP_3)
	v_add_co_ci_u32_e32 v1, vcc_lo, s1, v1, vcc_lo
	v_cvt_f32_i32_e32 v2, v2
	global_store_b32 v[0:1], v2, off
.LBB0_2:
	s_nop 0
	s_sendmsg sendmsg(MSG_DEALLOC_VGPRS)
	s_endpgm
	.section	.rodata,"a",@progbits
	.p2align	6, 0x0
	.amdhsa_kernel _Z6init_xPfii
		.amdhsa_group_segment_fixed_size 0
		.amdhsa_private_segment_fixed_size 0
		.amdhsa_kernarg_size 272
		.amdhsa_user_sgpr_count 15
		.amdhsa_user_sgpr_dispatch_ptr 0
		.amdhsa_user_sgpr_queue_ptr 0
		.amdhsa_user_sgpr_kernarg_segment_ptr 1
		.amdhsa_user_sgpr_dispatch_id 0
		.amdhsa_user_sgpr_private_segment_size 0
		.amdhsa_wavefront_size32 1
		.amdhsa_uses_dynamic_stack 0
		.amdhsa_enable_private_segment 0
		.amdhsa_system_sgpr_workgroup_id_x 1
		.amdhsa_system_sgpr_workgroup_id_y 0
		.amdhsa_system_sgpr_workgroup_id_z 0
		.amdhsa_system_sgpr_workgroup_info 0
		.amdhsa_system_vgpr_workitem_id 0
		.amdhsa_next_free_vgpr 4
		.amdhsa_next_free_sgpr 16
		.amdhsa_reserve_vcc 1
		.amdhsa_float_round_mode_32 0
		.amdhsa_float_round_mode_16_64 0
		.amdhsa_float_denorm_mode_32 3
		.amdhsa_float_denorm_mode_16_64 3
		.amdhsa_dx10_clamp 1
		.amdhsa_ieee_mode 1
		.amdhsa_fp16_overflow 0
		.amdhsa_workgroup_processor_mode 1
		.amdhsa_memory_ordered 1
		.amdhsa_forward_progress 0
		.amdhsa_shared_vgpr_count 0
		.amdhsa_exception_fp_ieee_invalid_op 0
		.amdhsa_exception_fp_denorm_src 0
		.amdhsa_exception_fp_ieee_div_zero 0
		.amdhsa_exception_fp_ieee_overflow 0
		.amdhsa_exception_fp_ieee_underflow 0
		.amdhsa_exception_fp_ieee_inexact 0
		.amdhsa_exception_int_div_zero 0
	.end_amdhsa_kernel
	.text
.Lfunc_end0:
	.size	_Z6init_xPfii, .Lfunc_end0-_Z6init_xPfii
                                        ; -- End function
	.section	.AMDGPU.csdata,"",@progbits
; Kernel info:
; codeLenInByte = 268
; NumSgprs: 18
; NumVgprs: 4
; ScratchSize: 0
; MemoryBound: 0
; FloatMode: 240
; IeeeMode: 1
; LDSByteSize: 0 bytes/workgroup (compile time only)
; SGPRBlocks: 2
; VGPRBlocks: 0
; NumSGPRsForWavesPerEU: 18
; NumVGPRsForWavesPerEU: 4
; Occupancy: 16
; WaveLimiterHint : 0
; COMPUTE_PGM_RSRC2:SCRATCH_EN: 0
; COMPUTE_PGM_RSRC2:USER_SGPR: 15
; COMPUTE_PGM_RSRC2:TRAP_HANDLER: 0
; COMPUTE_PGM_RSRC2:TGID_X_EN: 1
; COMPUTE_PGM_RSRC2:TGID_Y_EN: 0
; COMPUTE_PGM_RSRC2:TGID_Z_EN: 0
; COMPUTE_PGM_RSRC2:TIDIG_COMP_CNT: 0
	.text
	.protected	_Z12shuffle_rowsPfiij   ; -- Begin function _Z12shuffle_rowsPfiij
	.globl	_Z12shuffle_rowsPfiij
	.p2align	8
	.type	_Z12shuffle_rowsPfiij,@function
_Z12shuffle_rowsPfiij:                  ; @_Z12shuffle_rowsPfiij
; %bb.0:
	s_load_b128 s[4:7], s[0:1], 0x8
	s_waitcnt lgkmcnt(0)
	s_cmp_ge_i32 s15, s4
	s_cbranch_scc1 .LBB1_4
; %bb.1:
	s_cmp_lt_i32 s5, 2
	s_cbranch_scc1 .LBB1_4
; %bb.2:
	s_load_b64 s[2:3], s[0:1], 0x0
	s_mul_i32 s0, s15, s5
	v_mov_b32_e32 v0, 0
	s_ashr_i32 s1, s0, 31
	s_delay_alu instid0(SALU_CYCLE_1)
	s_lshl_b64 s[10:11], s[0:1], 2
	s_mov_b32 s1, 0
	s_waitcnt lgkmcnt(0)
	s_add_u32 s4, s2, s10
	s_addc_u32 s7, s3, s11
	s_add_i32 s0, s5, -1
	s_xor_b32 s8, s15, s6
	s_lshl_b64 s[12:13], s[0:1], 2
	s_sub_i32 s6, 0, s5
	s_add_u32 s0, s10, s12
	s_addc_u32 s9, s11, s13
	s_add_u32 s2, s2, s0
	s_addc_u32 s3, s3, s9
	s_set_inst_prefetch_distance 0x1
	.p2align	6
.LBB1_3:                                ; =>This Inner Loop Header: Depth=1
	v_cvt_f32_u32_e32 v1, s5
	s_lshl_b32 s0, s8, 13
	s_delay_alu instid0(SALU_CYCLE_1) | instskip(NEXT) | instid1(SALU_CYCLE_1)
	s_xor_b32 s0, s0, s8
	s_lshr_b32 s8, s0, 17
	s_delay_alu instid0(VALU_DEP_1) | instskip(SKIP_1) | instid1(SALU_CYCLE_1)
	v_rcp_iflag_f32_e32 v1, v1
	s_xor_b32 s0, s8, s0
	s_lshl_b32 s10, s0, 5
	s_waitcnt_depctr 0xfff
	v_mul_f32_e32 v1, 0x4f7ffffe, v1
	s_delay_alu instid0(VALU_DEP_1) | instskip(NEXT) | instid1(VALU_DEP_1)
	v_cvt_u32_f32_e32 v1, v1
	v_readfirstlane_b32 s9, v1
	s_delay_alu instid0(VALU_DEP_1) | instskip(NEXT) | instid1(SALU_CYCLE_1)
	s_mul_i32 s8, s6, s9
	s_mul_hi_u32 s11, s9, s8
	s_xor_b32 s8, s10, s0
	s_add_i32 s9, s9, s11
	s_delay_alu instid0(SALU_CYCLE_1) | instskip(SKIP_2) | instid1(SALU_CYCLE_1)
	s_mul_hi_u32 s0, s8, s9
	s_add_i32 s9, s5, -1
	s_mul_i32 s0, s0, s5
	s_sub_i32 s0, s8, s0
	s_delay_alu instid0(SALU_CYCLE_1) | instskip(SKIP_2) | instid1(SALU_CYCLE_1)
	s_sub_i32 s10, s0, s5
	s_cmp_ge_u32 s0, s5
	s_cselect_b32 s0, s10, s0
	s_add_i32 s10, s0, s6
	s_cmp_ge_u32 s0, s5
	s_cselect_b32 s0, s10, s0
	s_delay_alu instid0(SALU_CYCLE_1) | instskip(NEXT) | instid1(SALU_CYCLE_1)
	s_lshl_b64 s[10:11], s[0:1], 2
	s_add_u32 s10, s4, s10
	s_addc_u32 s11, s7, s11
	s_clause 0x1
	global_load_b32 v1, v0, s[10:11]
	global_load_b32 v2, v0, s[2:3]
	s_add_i32 s6, s6, 1
	s_waitcnt vmcnt(1)
	global_store_b32 v0, v1, s[2:3]
	s_add_u32 s2, s2, -4
	s_addc_u32 s3, s3, -1
	s_cmp_gt_u32 s5, 2
	s_mov_b32 s5, s9
	s_waitcnt vmcnt(0)
	global_store_b32 v0, v2, s[10:11]
	s_cbranch_scc1 .LBB1_3
.LBB1_4:
	s_set_inst_prefetch_distance 0x2
	s_nop 0
	s_sendmsg sendmsg(MSG_DEALLOC_VGPRS)
	s_endpgm
	.section	.rodata,"a",@progbits
	.p2align	6, 0x0
	.amdhsa_kernel _Z12shuffle_rowsPfiij
		.amdhsa_group_segment_fixed_size 0
		.amdhsa_private_segment_fixed_size 0
		.amdhsa_kernarg_size 20
		.amdhsa_user_sgpr_count 15
		.amdhsa_user_sgpr_dispatch_ptr 0
		.amdhsa_user_sgpr_queue_ptr 0
		.amdhsa_user_sgpr_kernarg_segment_ptr 1
		.amdhsa_user_sgpr_dispatch_id 0
		.amdhsa_user_sgpr_private_segment_size 0
		.amdhsa_wavefront_size32 1
		.amdhsa_uses_dynamic_stack 0
		.amdhsa_enable_private_segment 0
		.amdhsa_system_sgpr_workgroup_id_x 1
		.amdhsa_system_sgpr_workgroup_id_y 0
		.amdhsa_system_sgpr_workgroup_id_z 0
		.amdhsa_system_sgpr_workgroup_info 0
		.amdhsa_system_vgpr_workitem_id 0
		.amdhsa_next_free_vgpr 3
		.amdhsa_next_free_sgpr 16
		.amdhsa_reserve_vcc 0
		.amdhsa_float_round_mode_32 0
		.amdhsa_float_round_mode_16_64 0
		.amdhsa_float_denorm_mode_32 3
		.amdhsa_float_denorm_mode_16_64 3
		.amdhsa_dx10_clamp 1
		.amdhsa_ieee_mode 1
		.amdhsa_fp16_overflow 0
		.amdhsa_workgroup_processor_mode 1
		.amdhsa_memory_ordered 1
		.amdhsa_forward_progress 0
		.amdhsa_shared_vgpr_count 0
		.amdhsa_exception_fp_ieee_invalid_op 0
		.amdhsa_exception_fp_denorm_src 0
		.amdhsa_exception_fp_ieee_div_zero 0
		.amdhsa_exception_fp_ieee_overflow 0
		.amdhsa_exception_fp_ieee_underflow 0
		.amdhsa_exception_fp_ieee_inexact 0
		.amdhsa_exception_int_div_zero 0
	.end_amdhsa_kernel
	.text
.Lfunc_end1:
	.size	_Z12shuffle_rowsPfiij, .Lfunc_end1-_Z12shuffle_rowsPfiij
                                        ; -- End function
	.section	.AMDGPU.csdata,"",@progbits
; Kernel info:
; codeLenInByte = 336
; NumSgprs: 16
; NumVgprs: 3
; ScratchSize: 0
; MemoryBound: 0
; FloatMode: 240
; IeeeMode: 1
; LDSByteSize: 0 bytes/workgroup (compile time only)
; SGPRBlocks: 1
; VGPRBlocks: 0
; NumSGPRsForWavesPerEU: 16
; NumVGPRsForWavesPerEU: 3
; Occupancy: 16
; WaveLimiterHint : 0
; COMPUTE_PGM_RSRC2:SCRATCH_EN: 0
; COMPUTE_PGM_RSRC2:USER_SGPR: 15
; COMPUTE_PGM_RSRC2:TRAP_HANDLER: 0
; COMPUTE_PGM_RSRC2:TGID_X_EN: 1
; COMPUTE_PGM_RSRC2:TGID_Y_EN: 0
; COMPUTE_PGM_RSRC2:TGID_Z_EN: 0
; COMPUTE_PGM_RSRC2:TIDIG_COMP_CNT: 0
	.section	.text._Z27radix_topk_one_block_kernelIfiLi11ELi1024ELb1ELb0EL5Phase0EEvPKT_PKT0_lS6_S6_S4_PS1_PS4_bPci,"axG",@progbits,_Z27radix_topk_one_block_kernelIfiLi11ELi1024ELb1ELb0EL5Phase0EEvPKT_PKT0_lS6_S6_S4_PS1_PS4_bPci,comdat
	.protected	_Z27radix_topk_one_block_kernelIfiLi11ELi1024ELb1ELb0EL5Phase0EEvPKT_PKT0_lS6_S6_S4_PS1_PS4_bPci ; -- Begin function _Z27radix_topk_one_block_kernelIfiLi11ELi1024ELb1ELb0EL5Phase0EEvPKT_PKT0_lS6_S6_S4_PS1_PS4_bPci
	.globl	_Z27radix_topk_one_block_kernelIfiLi11ELi1024ELb1ELb0EL5Phase0EEvPKT_PKT0_lS6_S6_S4_PS1_PS4_bPci
	.p2align	8
	.type	_Z27radix_topk_one_block_kernelIfiLi11ELi1024ELb1ELb0EL5Phase0EEvPKT_PKT0_lS6_S6_S4_PS1_PS4_bPci,@function
_Z27radix_topk_one_block_kernelIfiLi11ELi1024ELb1ELb0EL5Phase0EEvPKT_PKT0_lS6_S6_S4_PS1_PS4_bPci: ; @_Z27radix_topk_one_block_kernelIfiLi11ELi1024ELb1ELb0EL5Phase0EEvPKT_PKT0_lS6_S6_S4_PS1_PS4_bPci
; %bb.0:
	s_clause 0x1
	s_load_b256 s[4:11], s[0:1], 0x0
	s_load_b64 s[2:3], s[0:1], 0x20
	s_mov_b32 s16, s15
	s_mov_b32 s17, 0
	s_waitcnt lgkmcnt(0)
	s_cmp_eq_u64 s[10:11], 0
	s_cselect_b32 s12, -1, 0
	s_cmp_eq_u64 s[2:3], 0
	s_cselect_b32 s13, -1, 0
	s_delay_alu instid0(SALU_CYCLE_1) | instskip(NEXT) | instid1(SALU_CYCLE_1)
	s_or_b32 s12, s12, s13
	s_and_b32 vcc_lo, exec_lo, s12
	s_mov_b32 s12, s8
	s_cbranch_vccnz .LBB2_2
; %bb.1:
	s_lshl_b64 s[12:13], s[16:17], 2
	s_delay_alu instid0(SALU_CYCLE_1)
	s_add_u32 s2, s2, s12
	s_addc_u32 s3, s3, s13
	s_add_u32 s10, s10, s12
	s_addc_u32 s11, s11, s13
	s_load_b32 s17, s[10:11], 0x0
	s_load_b32 s12, s[2:3], 0x0
.LBB2_2:
	s_load_b32 s26, s[0:1], 0x28
	v_cmp_ne_u32_e64 s2, 0, v0
	v_cmp_eq_u32_e64 s3, 0, v0
	s_waitcnt lgkmcnt(0)
	s_sub_i32 s33, s12, s17
	s_delay_alu instid0(VALU_DEP_1)
	s_and_saveexec_b32 s10, s3
	s_cbranch_execz .LBB2_4
; %bb.3:
	v_dual_mov_b32 v2, s33 :: v_dual_mov_b32 v1, s26
	v_dual_mov_b32 v4, 0 :: v_dual_mov_b32 v3, s33
	ds_store_b128 v4, v[1:4]
	ds_store_2addr_b32 v4, v4, v4 offset0:96 offset1:128
.LBB2_4:
	s_or_b32 exec_lo, exec_lo, s10
	s_load_b128 s[12:15], s[0:1], 0x30
	s_mul_i32 s9, s16, s9
	s_mul_hi_u32 s10, s16, s8
	s_mul_i32 s20, s26, s16
	s_add_i32 s11, s10, s9
	s_mul_i32 s10, s16, s8
	s_waitcnt lgkmcnt(0)
	s_lshl_b64 s[18:19], s[10:11], 2
	s_barrier
	s_add_u32 s10, s4, s18
	s_addc_u32 s11, s5, s19
	s_ashr_i32 s4, s26, 31
	s_mul_hi_u32 s5, s26, s16
	s_mul_i32 s4, s4, s16
	buffer_gl0_inv
	s_add_i32 s21, s5, s4
	s_cmp_gt_i32 s33, s26
	s_mov_b32 s4, -1
	s_cbranch_scc1 .LBB2_11
; %bb.5:
	s_mov_b32 s5, exec_lo
	v_cmpx_gt_i32_e64 s26, v0
	s_cbranch_execz .LBB2_10
; %bb.6:
	v_lshlrev_b32_e32 v1, 2, v0
	s_lshl_b64 s[22:23], s[20:21], 2
	v_mov_b32_e32 v7, v0
	s_mov_b32 s9, 0
	s_delay_alu instid0(VALU_DEP_2) | instskip(NEXT) | instid1(VALU_DEP_1)
	v_add_co_u32 v3, s4, s22, v1
	v_add_co_ci_u32_e64 v4, null, s23, 0, s4
	s_delay_alu instid0(VALU_DEP_2) | instskip(NEXT) | instid1(VALU_DEP_2)
	v_add_co_u32 v1, vcc_lo, s14, v3
	v_add_co_ci_u32_e32 v2, vcc_lo, s15, v4, vcc_lo
	v_add_co_u32 v3, vcc_lo, s12, v3
	v_add_co_ci_u32_e32 v4, vcc_lo, s13, v4, vcc_lo
	s_set_inst_prefetch_distance 0x1
	s_branch .LBB2_8
	.p2align	6
.LBB2_7:                                ;   in Loop: Header=BB2_8 Depth=1
	s_or_b32 exec_lo, exec_lo, s4
	v_add_nc_u32_e32 v7, 0x400, v7
	v_add_co_u32 v1, vcc_lo, 0x1000, v1
	v_add_co_ci_u32_e32 v2, vcc_lo, 0, v2, vcc_lo
	s_waitcnt vmcnt(0)
	global_store_b32 v[3:4], v6, off
	v_cmp_le_i32_e32 vcc_lo, s26, v7
	v_add_co_u32 v3, s4, 0x1000, v3
	s_delay_alu instid0(VALU_DEP_1) | instskip(SKIP_1) | instid1(SALU_CYCLE_1)
	v_add_co_ci_u32_e64 v4, s4, 0, v4, s4
	s_or_b32 s9, vcc_lo, s9
	s_and_not1_b32 exec_lo, exec_lo, s9
	s_cbranch_execz .LBB2_10
.LBB2_8:                                ; =>This Inner Loop Header: Depth=1
	v_dual_mov_b32 v6, 0 :: v_dual_add_nc_u32 v5, s17, v7
	v_cmp_gt_i32_e32 vcc_lo, s33, v7
	s_delay_alu instid0(VALU_DEP_2)
	v_cndmask_b32_e32 v8, -1, v5, vcc_lo
	global_store_b32 v[1:2], v8, off
	s_and_saveexec_b32 s4, vcc_lo
	s_cbranch_execz .LBB2_7
; %bb.9:                                ;   in Loop: Header=BB2_8 Depth=1
	v_ashrrev_i32_e32 v6, 31, v5
	s_delay_alu instid0(VALU_DEP_1) | instskip(NEXT) | instid1(VALU_DEP_1)
	v_lshlrev_b64 v[5:6], 2, v[5:6]
	v_add_co_u32 v5, vcc_lo, s10, v5
	s_delay_alu instid0(VALU_DEP_2)
	v_add_co_ci_u32_e32 v6, vcc_lo, s11, v6, vcc_lo
	global_load_b32 v6, v[5:6], off
	s_branch .LBB2_7
.LBB2_10:
	s_set_inst_prefetch_distance 0x2
	s_or_b32 exec_lo, exec_lo, s5
	s_mov_b32 s4, 0
.LBB2_11:
	s_delay_alu instid0(SALU_CYCLE_1)
	s_and_not1_b32 vcc_lo, exec_lo, s4
	s_cbranch_vccnz .LBB2_219
; %bb.12:
	s_lshl_b64 s[4:5], s[20:21], 2
	v_or_b32_e32 v1, 0x400, v0
	s_add_u32 s27, s12, s4
	s_addc_u32 s28, s13, s5
	s_add_u32 s29, s14, s4
	s_addc_u32 s30, s15, s5
	s_load_b64 s[12:13], s[0:1], 0x48
	s_add_u32 s4, s6, s18
	s_addc_u32 s5, s7, s19
	v_lshrrev_b32_e32 v1, 3, v1
	s_cmp_lg_u64 s[6:7], 0
	s_load_b32 s6, s[0:1], 0x64
	v_lshrrev_b32_e32 v3, 4, v0
	v_lshlrev_b32_e32 v4, 2, v0
	v_dual_mov_b32 v10, 0 :: v_dual_and_b32 v1, 0xfc, v1
	s_cselect_b32 s5, s5, 0
	s_delay_alu instid0(VALU_DEP_3) | instskip(SKIP_1) | instid1(VALU_DEP_2)
	v_lshl_add_u32 v3, v0, 1, v3
	s_cselect_b32 s4, s4, 0
	v_add3_u32 v8, v1, v4, 0x4280
	v_dual_mov_b32 v16, 1 :: v_dual_add_nc_u32 v1, -1, v0
	s_lshr_b32 s0, s8, 5
	v_lshrrev_b32_e32 v2, 3, v0
	s_and_b32 s37, s0, 0x7ffffc0
	v_lshl_add_u32 v9, v3, 2, 0x4280
	s_mul_hi_u32 s1, s16, s37
	s_mul_i32 s0, s16, s37
	v_lshrrev_b32_e32 v3, 5, v1
	s_lshl_b64 s[0:1], s[0:1], 4
	v_and_b32_e32 v2, 0x7c, v2
	s_waitcnt lgkmcnt(0)
	s_add_u32 s8, s12, s0
	s_addc_u32 s9, s13, s1
	s_lshl_b32 s0, s37, 3
	v_mul_u32_u24_e32 v5, 33, v0
	v_dual_mov_b32 v18, 0x7c :: v_dual_add_nc_u32 v1, v3, v1
	s_and_b32 s31, s6, 0xffff
	s_add_u32 s12, s8, s0
	s_addc_u32 s13, s9, 0
	s_lshl_b32 s1, s37, 2
	v_add3_u32 v7, v4, v2, 0x4280
	v_cmp_gt_u32_e64 s0, 32, v0
	s_sub_u32 s14, s12, s1
	v_or_b32_e32 v11, 0x6380, v2
	v_lshl_add_u32 v12, v5, 2, 0x4280
	v_lshl_add_u32 v13, v1, 2, 0x4280
	v_add_nc_u32_e32 v14, 0x280, v4
	v_add_nc_u32_e32 v15, 0x27c, v4
	v_lshlrev_b32_e32 v17, 2, v0
	v_mbcnt_lo_u32_b32 v19, -1, 0
	s_subb_u32 s15, s13, 0
	s_add_u32 s16, s12, s1
	s_mov_b32 s38, 0
	s_addc_u32 s17, s13, 0
	s_lshl_b32 s39, s31, 2
	s_mov_b64 s[18:19], src_shared_base
	s_branch .LBB2_14
.LBB2_13:                               ;   in Loop: Header=BB2_14 Depth=1
	s_delay_alu instid0(VALU_DEP_1)
	s_and_not1_b32 vcc_lo, exec_lo, s20
	s_cbranch_vccz .LBB2_139
.LBB2_14:                               ; =>This Loop Header: Depth=1
                                        ;     Child Loop BB2_20 Depth 2
                                        ;     Child Loop BB2_30 Depth 2
	;; [unrolled: 1-line block ×6, first 2 shown]
	s_mov_b64 s[22:23], 0
	s_cmp_lt_i32 s38, 1
	s_mov_b64 s[20:21], s[10:11]
	s_mov_b64 s[6:7], 0
	;; [unrolled: 1-line block ×3, first 2 shown]
	s_cbranch_scc1 .LBB2_19
; %bb.15:                               ;   in Loop: Header=BB2_14 Depth=1
	s_cmp_lg_u32 s38, 1
	s_mov_b32 s1, -1
                                        ; implicit-def: $sgpr24_sgpr25
                                        ; implicit-def: $sgpr6_sgpr7
                                        ; implicit-def: $sgpr22_sgpr23
	s_cbranch_scc0 .LBB2_17
; %bb.16:                               ;   in Loop: Header=BB2_14 Depth=1
	s_mov_b32 s1, 0
	s_mov_b64 s[24:25], s[16:17]
	s_mov_b64 s[6:7], s[14:15]
	;; [unrolled: 1-line block ×3, first 2 shown]
.LBB2_17:                               ;   in Loop: Header=BB2_14 Depth=1
	s_and_not1_b32 vcc_lo, exec_lo, s1
	s_mov_b64 s[20:21], s[8:9]
	s_cbranch_vccnz .LBB2_19
; %bb.18:                               ;   in Loop: Header=BB2_14 Depth=1
	s_mov_b64 s[24:25], s[12:13]
	s_mov_b64 s[6:7], s[8:9]
	;; [unrolled: 1-line block ×4, first 2 shown]
.LBB2_19:                               ;   in Loop: Header=BB2_14 Depth=1
	ds_load_b96 v[2:4], v10
	v_mov_b32_e32 v1, v14
	s_mov_b32 s18, 0
	s_waitcnt lgkmcnt(0)
	v_readfirstlane_b32 s40, v2
	v_mov_b32_e32 v2, v0
	v_readfirstlane_b32 s34, v3
	v_readfirstlane_b32 s1, v4
.LBB2_20:                               ;   Parent Loop BB2_14 Depth=1
                                        ; =>  This Inner Loop Header: Depth=2
	s_delay_alu instid0(VALU_DEP_3) | instskip(SKIP_4) | instid1(SALU_CYCLE_1)
	v_add_nc_u32_e32 v2, s31, v2
	ds_store_b32 v1, v10
	v_add_nc_u32_e32 v1, s39, v1
	v_cmp_lt_u32_e32 vcc_lo, 0xfff, v2
	s_or_b32 s18, vcc_lo, s18
	s_and_not1_b32 exec_lo, exec_lo, s18
	s_cbranch_execnz .LBB2_20
; %bb.21:                               ;   in Loop: Header=BB2_14 Depth=1
	s_or_b32 exec_lo, exec_lo, s18
	s_and_saveexec_b32 s18, s3
	s_cbranch_execz .LBB2_23
; %bb.22:                               ;   in Loop: Header=BB2_14 Depth=1
	ds_store_b32 v10, v10 offset:128
.LBB2_23:                               ;   in Loop: Header=BB2_14 Depth=1
	s_or_b32 exec_lo, exec_lo, s18
	s_cmp_gt_i32 s1, s37
	s_waitcnt lgkmcnt(0)
	s_waitcnt_vscnt null, 0x0
	s_cselect_b32 s43, -1, 0
	s_barrier
	s_and_b32 s18, s43, exec_lo
	s_cselect_b32 s20, s10, s20
	s_cselect_b32 s21, s11, s21
	;; [unrolled: 1-line block ×3, first 2 shown]
	s_cmp_gt_i32 s34, s37
	buffer_gl0_inv
	s_cselect_b32 s35, 0, s24
	s_mul_i32 s24, s38, -11
	s_cselect_b32 s36, 0, s25
	s_cselect_b32 s7, 0, s7
	;; [unrolled: 1-line block ×3, first 2 shown]
	s_max_i32 s18, s24, 0xffffffeb
	s_add_i32 s24, s24, 32
	s_add_i32 s18, s18, 21
	s_delay_alu instid0(SALU_CYCLE_1) | instskip(NEXT) | instid1(SALU_CYCLE_1)
	s_sub_i32 s1, s24, s18
	s_lshl_b32 s1, -1, s1
	s_delay_alu instid0(SALU_CYCLE_1)
	s_not_b32 s41, s1
	s_cmp_lg_u32 s38, 0
	s_cbranch_scc0 .LBB2_39
; %bb.24:                               ;   in Loop: Header=BB2_14 Depth=1
	ds_load_b32 v4, v10 offset:12
	v_cmp_gt_i32_e64 s1, s42, v0
	s_cmp_lg_u64 s[6:7], 0
	s_cbranch_scc0 .LBB2_41
; %bb.25:                               ;   in Loop: Header=BB2_14 Depth=1
	s_and_b32 s25, s43, exec_lo
	s_cselect_b32 s23, s5, s23
	s_cselect_b32 s22, s4, s22
	s_delay_alu instid0(SALU_CYCLE_1)
	s_cmp_eq_u64 s[22:23], 0
	s_cbranch_scc1 .LBB2_42
; %bb.26:                               ;   in Loop: Header=BB2_14 Depth=1
	s_and_saveexec_b32 s25, s1
	s_cbranch_execz .LBB2_40
; %bb.27:                               ;   in Loop: Header=BB2_14 Depth=1
	v_mov_b32_e32 v1, v0
	s_lshl_b32 s43, -1, s24
	s_mov_b32 s44, 0
	s_branch .LBB2_30
.LBB2_28:                               ;   in Loop: Header=BB2_30 Depth=2
	s_or_b32 exec_lo, exec_lo, s46
	v_add_co_u32 v2, vcc_lo, s22, v2
	v_add_co_ci_u32_e32 v3, vcc_lo, s23, v3, vcc_lo
	s_waitcnt lgkmcnt(0)
	v_readfirstlane_b32 s46, v21
	v_lshrrev_b32_e32 v6, s18, v6
	flat_load_b32 v22, v[2:3]
	v_add_nc_u32_e32 v2, s46, v20
	v_and_b32_e32 v6, s41, v6
	s_delay_alu instid0(VALU_DEP_2) | instskip(NEXT) | instid1(VALU_DEP_2)
	v_ashrrev_i32_e32 v3, 31, v2
	v_lshlrev_b32_e32 v6, 2, v6
	s_delay_alu instid0(VALU_DEP_2) | instskip(NEXT) | instid1(VALU_DEP_1)
	v_lshlrev_b64 v[2:3], 2, v[2:3]
	v_add_co_u32 v20, vcc_lo, s6, v2
	s_delay_alu instid0(VALU_DEP_2)
	v_add_co_ci_u32_e32 v21, vcc_lo, s7, v3, vcc_lo
	v_add_co_u32 v2, vcc_lo, s35, v2
	v_add_co_ci_u32_e32 v3, vcc_lo, s36, v3, vcc_lo
	flat_store_b32 v[20:21], v5
	s_waitcnt vmcnt(0) lgkmcnt(1)
	flat_store_b32 v[2:3], v22
	ds_add_u32 v6, v16 offset:640
.LBB2_29:                               ;   in Loop: Header=BB2_30 Depth=2
	s_or_b32 exec_lo, exec_lo, s45
	v_add_nc_u32_e32 v1, s31, v1
	s_delay_alu instid0(VALU_DEP_1) | instskip(SKIP_1) | instid1(SALU_CYCLE_1)
	v_cmp_le_i32_e32 vcc_lo, s42, v1
	s_or_b32 s44, vcc_lo, s44
	s_and_not1_b32 exec_lo, exec_lo, s44
	s_cbranch_execz .LBB2_40
.LBB2_30:                               ;   Parent Loop BB2_14 Depth=1
                                        ; =>  This Inner Loop Header: Depth=2
	s_delay_alu instid0(VALU_DEP_1) | instskip(SKIP_1) | instid1(VALU_DEP_1)
	v_ashrrev_i32_e32 v2, 31, v1
	s_mov_b32 s45, exec_lo
	v_lshlrev_b64 v[2:3], 2, v[1:2]
	s_delay_alu instid0(VALU_DEP_1) | instskip(NEXT) | instid1(VALU_DEP_2)
	v_add_co_u32 v5, vcc_lo, s20, v2
	v_add_co_ci_u32_e32 v6, vcc_lo, s21, v3, vcc_lo
	global_load_b32 v5, v[5:6], off
	s_waitcnt vmcnt(0)
	v_cmp_gt_f32_e32 vcc_lo, 0, v5
	v_cndmask_b32_e64 v6, 0x7fffffff, 0, vcc_lo
	s_delay_alu instid0(VALU_DEP_1) | instskip(NEXT) | instid1(VALU_DEP_1)
	v_xor_b32_e32 v6, v6, v5
	v_and_b32_e32 v20, s43, v6
	s_waitcnt lgkmcnt(0)
	s_delay_alu instid0(VALU_DEP_1)
	v_cmpx_ne_u32_e64 v20, v4
	s_xor_b32 s45, exec_lo, s45
	s_cbranch_execz .LBB2_36
; %bb.31:                               ;   in Loop: Header=BB2_30 Depth=2
	s_mov_b32 s46, exec_lo
	v_cmpx_lt_u32_e64 v20, v4
	s_cbranch_execz .LBB2_35
; %bb.32:                               ;   in Loop: Header=BB2_30 Depth=2
	s_mov_b32 s48, exec_lo
	s_mov_b32 s47, exec_lo
	v_mbcnt_lo_u32_b32 v6, s48, 0
                                        ; implicit-def: $vgpr20
	s_delay_alu instid0(VALU_DEP_1)
	v_cmpx_eq_u32_e32 0, v6
	s_cbranch_execz .LBB2_34
; %bb.33:                               ;   in Loop: Header=BB2_30 Depth=2
	s_bcnt1_i32_b32 s48, s48
	s_delay_alu instid0(SALU_CYCLE_1)
	v_mov_b32_e32 v20, s48
	ds_add_rtn_u32 v20, v10, v20 offset:384
.LBB2_34:                               ;   in Loop: Header=BB2_30 Depth=2
	s_or_b32 exec_lo, exec_lo, s47
	v_add_co_u32 v2, vcc_lo, s22, v2
	v_add_co_ci_u32_e32 v3, vcc_lo, s23, v3, vcc_lo
	s_waitcnt lgkmcnt(0)
	v_readfirstlane_b32 s47, v20
	flat_load_b32 v22, v[2:3]
	v_add_nc_u32_e32 v2, s47, v6
	s_delay_alu instid0(VALU_DEP_1) | instskip(NEXT) | instid1(VALU_DEP_1)
	v_ashrrev_i32_e32 v3, 31, v2
	v_lshlrev_b64 v[2:3], 2, v[2:3]
	s_delay_alu instid0(VALU_DEP_1) | instskip(NEXT) | instid1(VALU_DEP_2)
	v_add_co_u32 v20, vcc_lo, s27, v2
	v_add_co_ci_u32_e32 v21, vcc_lo, s28, v3, vcc_lo
	v_add_co_u32 v2, vcc_lo, s29, v2
	v_add_co_ci_u32_e32 v3, vcc_lo, s30, v3, vcc_lo
	global_store_b32 v[20:21], v5, off
	s_waitcnt vmcnt(0) lgkmcnt(0)
	global_store_b32 v[2:3], v22, off
.LBB2_35:                               ;   in Loop: Header=BB2_30 Depth=2
	s_or_b32 exec_lo, exec_lo, s46
                                        ; implicit-def: $vgpr5
                                        ; implicit-def: $vgpr2_vgpr3
                                        ; implicit-def: $vgpr6
.LBB2_36:                               ;   in Loop: Header=BB2_30 Depth=2
	s_and_not1_saveexec_b32 s45, s45
	s_cbranch_execz .LBB2_29
; %bb.37:                               ;   in Loop: Header=BB2_30 Depth=2
	s_mov_b32 s47, exec_lo
	s_mov_b32 s46, exec_lo
	v_mbcnt_lo_u32_b32 v20, s47, 0
                                        ; implicit-def: $vgpr21
	s_delay_alu instid0(VALU_DEP_1)
	v_cmpx_eq_u32_e32 0, v20
	s_cbranch_execz .LBB2_28
; %bb.38:                               ;   in Loop: Header=BB2_30 Depth=2
	s_bcnt1_i32_b32 s47, s47
	s_delay_alu instid0(SALU_CYCLE_1)
	v_mov_b32_e32 v21, s47
	ds_add_rtn_u32 v21, v10, v21 offset:128
	s_branch .LBB2_28
.LBB2_39:                               ;   in Loop: Header=BB2_14 Depth=1
                                        ; implicit-def: $sgpr22
	s_branch .LBB2_65
.LBB2_40:                               ;   in Loop: Header=BB2_14 Depth=1
	s_or_b32 exec_lo, exec_lo, s25
	s_mov_b32 s22, 0
	s_cbranch_execz .LBB2_43
	s_branch .LBB2_57
.LBB2_41:                               ;   in Loop: Header=BB2_14 Depth=1
                                        ; implicit-def: $sgpr22
	s_branch .LBB2_58
.LBB2_42:                               ;   in Loop: Header=BB2_14 Depth=1
	s_mov_b32 s22, -1
.LBB2_43:                               ;   in Loop: Header=BB2_14 Depth=1
	s_and_saveexec_b32 s22, s1
	s_cbranch_execz .LBB2_56
; %bb.44:                               ;   in Loop: Header=BB2_14 Depth=1
	v_mov_b32_e32 v1, v0
	s_lshl_b32 s1, -1, s24
	s_mov_b32 s23, 0
	s_branch .LBB2_47
.LBB2_45:                               ;   in Loop: Header=BB2_47 Depth=2
	s_or_b32 exec_lo, exec_lo, s43
	s_waitcnt lgkmcnt(0)
	v_readfirstlane_b32 s43, v6
	v_lshrrev_b32_e32 v3, s18, v3
	s_delay_alu instid0(VALU_DEP_2) | instskip(NEXT) | instid1(VALU_DEP_2)
	v_add_nc_u32_e32 v5, s43, v5
	v_and_b32_e32 v3, s41, v3
	s_delay_alu instid0(VALU_DEP_2) | instskip(NEXT) | instid1(VALU_DEP_2)
	v_ashrrev_i32_e32 v6, 31, v5
	v_lshlrev_b32_e32 v3, 2, v3
	s_delay_alu instid0(VALU_DEP_2) | instskip(NEXT) | instid1(VALU_DEP_1)
	v_lshlrev_b64 v[5:6], 2, v[5:6]
	v_add_co_u32 v20, vcc_lo, s6, v5
	s_delay_alu instid0(VALU_DEP_2)
	v_add_co_ci_u32_e32 v21, vcc_lo, s7, v6, vcc_lo
	v_add_co_u32 v5, vcc_lo, s35, v5
	v_add_co_ci_u32_e32 v6, vcc_lo, s36, v6, vcc_lo
	flat_store_b32 v[20:21], v2
	flat_store_b32 v[5:6], v1
	ds_add_u32 v3, v16 offset:640
.LBB2_46:                               ;   in Loop: Header=BB2_47 Depth=2
	s_or_b32 exec_lo, exec_lo, s25
	v_add_nc_u32_e32 v1, s31, v1
	s_delay_alu instid0(VALU_DEP_1) | instskip(SKIP_1) | instid1(SALU_CYCLE_1)
	v_cmp_le_i32_e32 vcc_lo, s42, v1
	s_or_b32 s23, vcc_lo, s23
	s_and_not1_b32 exec_lo, exec_lo, s23
	s_cbranch_execz .LBB2_56
.LBB2_47:                               ;   Parent Loop BB2_14 Depth=1
                                        ; =>  This Inner Loop Header: Depth=2
	s_delay_alu instid0(VALU_DEP_1) | instskip(SKIP_1) | instid1(VALU_DEP_1)
	v_ashrrev_i32_e32 v2, 31, v1
	s_mov_b32 s25, exec_lo
	v_lshlrev_b64 v[2:3], 2, v[1:2]
	s_delay_alu instid0(VALU_DEP_1) | instskip(NEXT) | instid1(VALU_DEP_2)
	v_add_co_u32 v2, vcc_lo, s20, v2
	v_add_co_ci_u32_e32 v3, vcc_lo, s21, v3, vcc_lo
	global_load_b32 v2, v[2:3], off
	s_waitcnt vmcnt(0)
	v_cmp_gt_f32_e32 vcc_lo, 0, v2
	v_cndmask_b32_e64 v3, 0x7fffffff, 0, vcc_lo
	s_delay_alu instid0(VALU_DEP_1) | instskip(NEXT) | instid1(VALU_DEP_1)
	v_xor_b32_e32 v3, v3, v2
	v_and_b32_e32 v5, s1, v3
	s_waitcnt lgkmcnt(0)
	s_delay_alu instid0(VALU_DEP_1)
	v_cmpx_ne_u32_e64 v5, v4
	s_xor_b32 s25, exec_lo, s25
	s_cbranch_execz .LBB2_53
; %bb.48:                               ;   in Loop: Header=BB2_47 Depth=2
	s_mov_b32 s43, exec_lo
	v_cmpx_lt_u32_e64 v5, v4
	s_cbranch_execz .LBB2_52
; %bb.49:                               ;   in Loop: Header=BB2_47 Depth=2
	s_mov_b32 s45, exec_lo
	s_mov_b32 s44, exec_lo
	v_mbcnt_lo_u32_b32 v3, s45, 0
                                        ; implicit-def: $vgpr5
	s_delay_alu instid0(VALU_DEP_1)
	v_cmpx_eq_u32_e32 0, v3
	s_cbranch_execz .LBB2_51
; %bb.50:                               ;   in Loop: Header=BB2_47 Depth=2
	s_bcnt1_i32_b32 s45, s45
	s_delay_alu instid0(SALU_CYCLE_1)
	v_mov_b32_e32 v5, s45
	ds_add_rtn_u32 v5, v10, v5 offset:384
.LBB2_51:                               ;   in Loop: Header=BB2_47 Depth=2
	s_or_b32 exec_lo, exec_lo, s44
	s_waitcnt lgkmcnt(0)
	v_readfirstlane_b32 s44, v5
	s_delay_alu instid0(VALU_DEP_1) | instskip(NEXT) | instid1(VALU_DEP_1)
	v_add_nc_u32_e32 v5, s44, v3
	v_ashrrev_i32_e32 v6, 31, v5
	s_delay_alu instid0(VALU_DEP_1) | instskip(NEXT) | instid1(VALU_DEP_1)
	v_lshlrev_b64 v[5:6], 2, v[5:6]
	v_add_co_u32 v20, vcc_lo, s27, v5
	s_delay_alu instid0(VALU_DEP_2)
	v_add_co_ci_u32_e32 v21, vcc_lo, s28, v6, vcc_lo
	v_add_co_u32 v5, vcc_lo, s29, v5
	v_add_co_ci_u32_e32 v6, vcc_lo, s30, v6, vcc_lo
	global_store_b32 v[20:21], v2, off
	global_store_b32 v[5:6], v1, off
.LBB2_52:                               ;   in Loop: Header=BB2_47 Depth=2
	s_or_b32 exec_lo, exec_lo, s43
                                        ; implicit-def: $vgpr2
                                        ; implicit-def: $vgpr3
.LBB2_53:                               ;   in Loop: Header=BB2_47 Depth=2
	s_and_not1_saveexec_b32 s25, s25
	s_cbranch_execz .LBB2_46
; %bb.54:                               ;   in Loop: Header=BB2_47 Depth=2
	s_mov_b32 s44, exec_lo
	s_mov_b32 s43, exec_lo
	v_mbcnt_lo_u32_b32 v5, s44, 0
                                        ; implicit-def: $vgpr6
	s_delay_alu instid0(VALU_DEP_1)
	v_cmpx_eq_u32_e32 0, v5
	s_cbranch_execz .LBB2_45
; %bb.55:                               ;   in Loop: Header=BB2_47 Depth=2
	s_bcnt1_i32_b32 s44, s44
	s_delay_alu instid0(SALU_CYCLE_1)
	v_mov_b32_e32 v6, s44
	ds_add_rtn_u32 v6, v10, v6 offset:128
	s_branch .LBB2_45
.LBB2_56:                               ;   in Loop: Header=BB2_14 Depth=1
	s_or_b32 exec_lo, exec_lo, s22
	s_mov_b32 s22, 0
.LBB2_57:                               ;   in Loop: Header=BB2_14 Depth=1
	s_cbranch_execnz .LBB2_64
.LBB2_58:                               ;   in Loop: Header=BB2_14 Depth=1
	s_mov_b32 s1, exec_lo
	v_cmpx_gt_i32_e64 s42, v0
	s_cbranch_execz .LBB2_63
; %bb.59:                               ;   in Loop: Header=BB2_14 Depth=1
	v_mov_b32_e32 v1, v0
	s_lshl_b32 s22, -1, s24
	s_mov_b32 s23, 0
	s_set_inst_prefetch_distance 0x1
	s_branch .LBB2_61
	.p2align	6
.LBB2_60:                               ;   in Loop: Header=BB2_61 Depth=2
	s_or_b32 exec_lo, exec_lo, s24
	v_add_nc_u32_e32 v1, s31, v1
	s_delay_alu instid0(VALU_DEP_1) | instskip(SKIP_1) | instid1(SALU_CYCLE_1)
	v_cmp_le_i32_e32 vcc_lo, s42, v1
	s_or_b32 s23, vcc_lo, s23
	s_and_not1_b32 exec_lo, exec_lo, s23
	s_cbranch_execz .LBB2_63
.LBB2_61:                               ;   Parent Loop BB2_14 Depth=1
                                        ; =>  This Inner Loop Header: Depth=2
	v_ashrrev_i32_e32 v2, 31, v1
	s_mov_b32 s24, exec_lo
	s_delay_alu instid0(VALU_DEP_1) | instskip(NEXT) | instid1(VALU_DEP_1)
	v_lshlrev_b64 v[2:3], 2, v[1:2]
	v_add_co_u32 v2, vcc_lo, s20, v2
	s_delay_alu instid0(VALU_DEP_2) | instskip(SKIP_4) | instid1(VALU_DEP_1)
	v_add_co_ci_u32_e32 v3, vcc_lo, s21, v3, vcc_lo
	global_load_b32 v2, v[2:3], off
	s_waitcnt vmcnt(0)
	v_cmp_gt_f32_e32 vcc_lo, 0, v2
	v_cndmask_b32_e64 v3, 0x7fffffff, 0, vcc_lo
	v_xor_b32_e32 v2, v3, v2
	s_delay_alu instid0(VALU_DEP_1) | instskip(SKIP_1) | instid1(VALU_DEP_1)
	v_and_b32_e32 v3, s22, v2
	s_waitcnt lgkmcnt(0)
	v_cmpx_eq_u32_e64 v3, v4
	s_cbranch_execz .LBB2_60
; %bb.62:                               ;   in Loop: Header=BB2_61 Depth=2
	v_lshrrev_b32_e32 v2, s18, v2
	s_delay_alu instid0(VALU_DEP_1) | instskip(NEXT) | instid1(VALU_DEP_1)
	v_and_b32_e32 v2, s41, v2
	v_lshlrev_b32_e32 v2, 2, v2
	ds_add_u32 v2, v16 offset:640
	s_branch .LBB2_60
.LBB2_63:                               ;   in Loop: Header=BB2_14 Depth=1
	s_set_inst_prefetch_distance 0x2
	s_or_b32 exec_lo, exec_lo, s1
	s_mov_b32 s22, 0
.LBB2_64:                               ;   in Loop: Header=BB2_14 Depth=1
	s_cbranch_execnz .LBB2_123
.LBB2_65:                               ;   in Loop: Header=BB2_14 Depth=1
	s_and_b32 s24, s20, 15
	s_mov_b32 s25, 0
	s_sub_i32 s1, 16, s24
	v_dual_mov_b32 v22, -1 :: v_dual_mov_b32 v23, 0
	s_lshr_b32 s1, s1, 2
	s_cmp_lg_u64 s[24:25], 0
	v_mov_b32_e32 v21, 0x7f7fffff
	s_cselect_b32 s1, s1, 0
	v_mov_b32_e32 v20, 0xff7fffff
	s_min_i32 s22, s1, s42
	s_mov_b32 s24, exec_lo
	s_sub_i32 s1, s42, s22
                                        ; implicit-def: $vgpr4
	s_delay_alu instid0(SALU_CYCLE_1) | instskip(NEXT) | instid1(SALU_CYCLE_1)
	s_ashr_i32 s23, s1, 31
	s_lshr_b32 s23, s23, 30
	s_delay_alu instid0(SALU_CYCLE_1) | instskip(NEXT) | instid1(SALU_CYCLE_1)
	s_add_i32 s1, s1, s23
	s_ashr_i32 s1, s1, 2
	s_delay_alu instid0(SALU_CYCLE_1)
	v_cmpx_gt_i32_e64 s1, v0
	s_cbranch_execz .LBB2_93
; %bb.66:                               ;   in Loop: Header=BB2_14 Depth=1
	s_ashr_i32 s23, s22, 31
	v_dual_mov_b32 v20, 0xff7fffff :: v_dual_mov_b32 v23, 0
	s_lshl_b64 s[44:45], s[22:23], 2
	v_dual_mov_b32 v21, 0x7f7fffff :: v_dual_mov_b32 v22, -1
	v_mov_b32_e32 v5, v0
	s_add_u32 s23, s20, s44
	s_addc_u32 s43, s21, s45
	s_branch .LBB2_68
.LBB2_67:                               ;   in Loop: Header=BB2_68 Depth=2
	s_or_b32 exec_lo, exec_lo, s44
	v_and_b32_e32 v6, 0x7ff, v25
	v_add_nc_u32_e32 v5, s31, v5
	s_delay_alu instid0(VALU_DEP_2) | instskip(NEXT) | instid1(VALU_DEP_2)
	v_lshlrev_b32_e32 v6, 2, v6
	v_cmp_le_i32_e32 vcc_lo, s1, v5
	ds_add_u32 v6, v16 offset:8832
	v_min3_f32 v6, v21, v1, v2
	v_max3_f32 v1, v20, v1, v2
	s_or_b32 s25, vcc_lo, s25
	s_delay_alu instid0(VALU_DEP_2) | instskip(NEXT) | instid1(VALU_DEP_2)
	v_min3_f32 v21, v6, v3, v4
	v_max3_f32 v20, v1, v3, v4
	s_and_not1_b32 exec_lo, exec_lo, s25
	s_cbranch_execz .LBB2_92
.LBB2_68:                               ;   Parent Loop BB2_14 Depth=1
                                        ; =>  This Inner Loop Header: Depth=2
	s_delay_alu instid0(VALU_DEP_1) | instskip(SKIP_1) | instid1(VALU_DEP_1)
	v_ashrrev_i32_e32 v6, 31, v5
	s_mov_b32 s44, exec_lo
                                        ; implicit-def: $sgpr45
	v_lshlrev_b64 v[1:2], 4, v[5:6]
	s_delay_alu instid0(VALU_DEP_1) | instskip(NEXT) | instid1(VALU_DEP_2)
	v_add_co_u32 v1, vcc_lo, s23, v1
	v_add_co_ci_u32_e32 v2, vcc_lo, s43, v2, vcc_lo
	s_waitcnt lgkmcnt(0)
	global_load_b128 v[1:4], v[1:2], off
	s_waitcnt vmcnt(0)
	v_cmp_gt_f32_e32 vcc_lo, 0, v1
	v_cndmask_b32_e64 v6, 0x7fffffff, 0, vcc_lo
	s_delay_alu instid0(VALU_DEP_1) | instskip(NEXT) | instid1(VALU_DEP_1)
	v_xor_b32_e32 v25, v6, v1
	v_lshrrev_b32_e32 v6, s18, v25
	s_delay_alu instid0(VALU_DEP_1) | instskip(NEXT) | instid1(VALU_DEP_1)
	v_and_b32_e32 v6, s41, v6
	v_cmpx_ne_u32_e64 v6, v22
	s_xor_b32 s44, exec_lo, s44
	s_cbranch_execz .LBB2_72
; %bb.69:                               ;   in Loop: Header=BB2_68 Depth=2
	s_mov_b32 s45, exec_lo
	v_cmpx_lt_i32_e32 0, v23
	s_cbranch_execz .LBB2_71
; %bb.70:                               ;   in Loop: Header=BB2_68 Depth=2
	v_lshlrev_b32_e32 v22, 2, v22
	ds_add_u32 v22, v23 offset:640
.LBB2_71:                               ;   in Loop: Header=BB2_68 Depth=2
	s_or_b32 exec_lo, exec_lo, s45
	s_mov_b32 s45, 1
                                        ; implicit-def: $vgpr23
                                        ; implicit-def: $vgpr22
.LBB2_72:                               ;   in Loop: Header=BB2_68 Depth=2
	s_or_saveexec_b32 s44, s44
	v_mov_b32_e32 v24, s45
	s_xor_b32 exec_lo, exec_lo, s44
; %bb.73:                               ;   in Loop: Header=BB2_68 Depth=2
	v_add_nc_u32_e32 v24, 1, v23
	v_mov_b32_e32 v6, v22
; %bb.74:                               ;   in Loop: Header=BB2_68 Depth=2
	s_or_b32 exec_lo, exec_lo, s44
	v_and_b32_e32 v22, 0x7ff, v25
	v_cmp_gt_f32_e32 vcc_lo, 0, v2
	s_mov_b32 s44, exec_lo
                                        ; implicit-def: $sgpr45
	s_delay_alu instid0(VALU_DEP_2) | instskip(SKIP_3) | instid1(VALU_DEP_1)
	v_lshlrev_b32_e32 v22, 2, v22
	v_cndmask_b32_e64 v23, 0x7fffffff, 0, vcc_lo
	ds_add_u32 v22, v16 offset:8832
	v_xor_b32_e32 v25, v23, v2
	v_lshrrev_b32_e32 v22, s18, v25
	s_delay_alu instid0(VALU_DEP_1) | instskip(NEXT) | instid1(VALU_DEP_1)
	v_and_b32_e32 v22, s41, v22
	v_cmpx_ne_u32_e64 v22, v6
	s_xor_b32 s44, exec_lo, s44
	s_cbranch_execz .LBB2_78
; %bb.75:                               ;   in Loop: Header=BB2_68 Depth=2
	s_mov_b32 s45, exec_lo
	v_cmpx_lt_i32_e32 0, v24
	s_cbranch_execz .LBB2_77
; %bb.76:                               ;   in Loop: Header=BB2_68 Depth=2
	v_lshlrev_b32_e32 v6, 2, v6
	ds_add_u32 v6, v24 offset:640
.LBB2_77:                               ;   in Loop: Header=BB2_68 Depth=2
	s_or_b32 exec_lo, exec_lo, s45
	s_mov_b32 s45, 1
                                        ; implicit-def: $vgpr24
                                        ; implicit-def: $vgpr6
.LBB2_78:                               ;   in Loop: Header=BB2_68 Depth=2
	s_or_saveexec_b32 s44, s44
	v_mov_b32_e32 v23, s45
	s_xor_b32 exec_lo, exec_lo, s44
; %bb.79:                               ;   in Loop: Header=BB2_68 Depth=2
	v_dual_mov_b32 v22, v6 :: v_dual_add_nc_u32 v23, 1, v24
; %bb.80:                               ;   in Loop: Header=BB2_68 Depth=2
	s_or_b32 exec_lo, exec_lo, s44
	v_and_b32_e32 v6, 0x7ff, v25
	v_cmp_gt_f32_e32 vcc_lo, 0, v3
	s_mov_b32 s44, exec_lo
                                        ; implicit-def: $sgpr45
	s_delay_alu instid0(VALU_DEP_2) | instskip(SKIP_3) | instid1(VALU_DEP_1)
	v_lshlrev_b32_e32 v6, 2, v6
	v_cndmask_b32_e64 v24, 0x7fffffff, 0, vcc_lo
	ds_add_u32 v6, v16 offset:8832
	v_xor_b32_e32 v25, v24, v3
	v_lshrrev_b32_e32 v6, s18, v25
	s_delay_alu instid0(VALU_DEP_1) | instskip(NEXT) | instid1(VALU_DEP_1)
	v_and_b32_e32 v6, s41, v6
	v_cmpx_ne_u32_e64 v6, v22
	s_xor_b32 s44, exec_lo, s44
	s_cbranch_execz .LBB2_84
; %bb.81:                               ;   in Loop: Header=BB2_68 Depth=2
	s_mov_b32 s45, exec_lo
	v_cmpx_lt_i32_e32 0, v23
	s_cbranch_execz .LBB2_83
; %bb.82:                               ;   in Loop: Header=BB2_68 Depth=2
	v_lshlrev_b32_e32 v22, 2, v22
	ds_add_u32 v22, v23 offset:640
.LBB2_83:                               ;   in Loop: Header=BB2_68 Depth=2
	s_or_b32 exec_lo, exec_lo, s45
	s_mov_b32 s45, 1
                                        ; implicit-def: $vgpr23
                                        ; implicit-def: $vgpr22
.LBB2_84:                               ;   in Loop: Header=BB2_68 Depth=2
	s_or_saveexec_b32 s44, s44
	v_mov_b32_e32 v24, s45
	s_xor_b32 exec_lo, exec_lo, s44
; %bb.85:                               ;   in Loop: Header=BB2_68 Depth=2
	v_add_nc_u32_e32 v24, 1, v23
	v_mov_b32_e32 v6, v22
; %bb.86:                               ;   in Loop: Header=BB2_68 Depth=2
	s_or_b32 exec_lo, exec_lo, s44
	v_and_b32_e32 v22, 0x7ff, v25
	v_cmp_gt_f32_e32 vcc_lo, 0, v4
	s_mov_b32 s44, exec_lo
                                        ; implicit-def: $sgpr45
	s_delay_alu instid0(VALU_DEP_2) | instskip(SKIP_3) | instid1(VALU_DEP_1)
	v_lshlrev_b32_e32 v22, 2, v22
	v_cndmask_b32_e64 v23, 0x7fffffff, 0, vcc_lo
	ds_add_u32 v22, v16 offset:8832
	v_xor_b32_e32 v25, v23, v4
	v_lshrrev_b32_e32 v22, s18, v25
	s_delay_alu instid0(VALU_DEP_1) | instskip(NEXT) | instid1(VALU_DEP_1)
	v_and_b32_e32 v22, s41, v22
	v_cmpx_ne_u32_e64 v22, v6
	s_xor_b32 s44, exec_lo, s44
	s_cbranch_execz .LBB2_90
; %bb.87:                               ;   in Loop: Header=BB2_68 Depth=2
	s_mov_b32 s45, exec_lo
	v_cmpx_lt_i32_e32 0, v24
	s_cbranch_execz .LBB2_89
; %bb.88:                               ;   in Loop: Header=BB2_68 Depth=2
	v_lshlrev_b32_e32 v6, 2, v6
	ds_add_u32 v6, v24 offset:640
.LBB2_89:                               ;   in Loop: Header=BB2_68 Depth=2
	s_or_b32 exec_lo, exec_lo, s45
	s_mov_b32 s45, 1
                                        ; implicit-def: $vgpr24
                                        ; implicit-def: $vgpr6
.LBB2_90:                               ;   in Loop: Header=BB2_68 Depth=2
	s_or_saveexec_b32 s44, s44
	v_mov_b32_e32 v23, s45
	s_xor_b32 exec_lo, exec_lo, s44
	s_cbranch_execz .LBB2_67
; %bb.91:                               ;   in Loop: Header=BB2_68 Depth=2
	v_dual_mov_b32 v22, v6 :: v_dual_add_nc_u32 v23, 1, v24
	s_branch .LBB2_67
.LBB2_92:                               ;   in Loop: Header=BB2_14 Depth=1
	s_or_b32 exec_lo, exec_lo, s25
.LBB2_93:                               ;   in Loop: Header=BB2_14 Depth=1
	s_delay_alu instid0(SALU_CYCLE_1) | instskip(NEXT) | instid1(SALU_CYCLE_1)
	s_or_b32 exec_lo, exec_lo, s24
	s_mov_b32 s23, exec_lo
	v_cmpx_gt_u32_e64 s22, v0
	s_cbranch_execz .LBB2_101
; %bb.94:                               ;   in Loop: Header=BB2_14 Depth=1
	s_waitcnt lgkmcnt(0)
	global_load_b32 v4, v17, s[20:21]
	s_mov_b32 s24, exec_lo
                                        ; implicit-def: $sgpr25
	s_waitcnt vmcnt(0)
	v_cmp_gt_f32_e32 vcc_lo, 0, v4
	v_cndmask_b32_e64 v1, 0x7fffffff, 0, vcc_lo
	s_delay_alu instid0(VALU_DEP_1) | instskip(NEXT) | instid1(VALU_DEP_1)
	v_xor_b32_e32 v2, v1, v4
	v_lshrrev_b32_e32 v1, s18, v2
	s_delay_alu instid0(VALU_DEP_1) | instskip(NEXT) | instid1(VALU_DEP_1)
	v_and_b32_e32 v1, s41, v1
	v_cmpx_ne_u32_e64 v1, v22
	s_xor_b32 s24, exec_lo, s24
	s_cbranch_execz .LBB2_98
; %bb.95:                               ;   in Loop: Header=BB2_14 Depth=1
	s_mov_b32 s25, exec_lo
	v_cmpx_lt_i32_e32 0, v23
	s_cbranch_execz .LBB2_97
; %bb.96:                               ;   in Loop: Header=BB2_14 Depth=1
	v_lshlrev_b32_e32 v3, 2, v22
	ds_add_u32 v3, v23 offset:640
.LBB2_97:                               ;   in Loop: Header=BB2_14 Depth=1
	s_or_b32 exec_lo, exec_lo, s25
	s_mov_b32 s25, 1
                                        ; implicit-def: $vgpr23
                                        ; implicit-def: $vgpr22
.LBB2_98:                               ;   in Loop: Header=BB2_14 Depth=1
	s_or_saveexec_b32 s24, s24
	v_mov_b32_e32 v3, s25
	s_xor_b32 exec_lo, exec_lo, s24
; %bb.99:                               ;   in Loop: Header=BB2_14 Depth=1
	v_add_nc_u32_e32 v3, 1, v23
	v_mov_b32_e32 v1, v22
; %bb.100:                              ;   in Loop: Header=BB2_14 Depth=1
	s_or_b32 exec_lo, exec_lo, s24
	v_dual_max_f32 v5, v4, v4 :: v_dual_and_b32 v2, 0x7ff, v2
	s_delay_alu instid0(VALU_DEP_2) | instskip(NEXT) | instid1(VALU_DEP_2)
	v_dual_mov_b32 v22, v1 :: v_dual_mov_b32 v23, v3
	v_lshlrev_b32_e32 v2, 2, v2
	ds_add_u32 v2, v16 offset:8832
	v_max_f32_e32 v2, v21, v21
	s_delay_alu instid0(VALU_DEP_1) | instskip(NEXT) | instid1(VALU_DEP_1)
	v_dual_max_f32 v6, v20, v20 :: v_dual_min_f32 v21, v2, v5
	v_max_f32_e32 v20, v6, v5
.LBB2_101:                              ;   in Loop: Header=BB2_14 Depth=1
	s_or_b32 exec_lo, exec_lo, s23
	s_lshl_b32 s1, s1, 2
	s_delay_alu instid0(SALU_CYCLE_1) | instskip(SKIP_1) | instid1(VALU_DEP_1)
	v_add3_u32 v1, s1, s22, v0
	s_mov_b32 s1, exec_lo
	v_cmpx_gt_i32_e64 s42, v1
	s_cbranch_execz .LBB2_109
; %bb.102:                              ;   in Loop: Header=BB2_14 Depth=1
	v_ashrrev_i32_e32 v2, 31, v1
	s_delay_alu instid0(VALU_DEP_1) | instskip(NEXT) | instid1(VALU_DEP_1)
	v_lshlrev_b64 v[1:2], 2, v[1:2]
	v_add_co_u32 v1, vcc_lo, s20, v1
	s_delay_alu instid0(VALU_DEP_2)
	v_add_co_ci_u32_e32 v2, vcc_lo, s21, v2, vcc_lo
	s_mov_b32 s20, exec_lo
                                        ; implicit-def: $sgpr21
	s_waitcnt lgkmcnt(0)
	global_load_b32 v4, v[1:2], off
	s_waitcnt vmcnt(0)
	v_cmp_gt_f32_e32 vcc_lo, 0, v4
	v_cndmask_b32_e64 v1, 0x7fffffff, 0, vcc_lo
	s_delay_alu instid0(VALU_DEP_1) | instskip(NEXT) | instid1(VALU_DEP_1)
	v_xor_b32_e32 v2, v1, v4
	v_lshrrev_b32_e32 v1, s18, v2
	s_delay_alu instid0(VALU_DEP_1) | instskip(NEXT) | instid1(VALU_DEP_1)
	v_and_b32_e32 v1, s41, v1
	v_cmpx_ne_u32_e64 v1, v22
	s_xor_b32 s20, exec_lo, s20
	s_cbranch_execz .LBB2_106
; %bb.103:                              ;   in Loop: Header=BB2_14 Depth=1
	s_mov_b32 s21, exec_lo
	v_cmpx_lt_i32_e32 0, v23
	s_cbranch_execz .LBB2_105
; %bb.104:                              ;   in Loop: Header=BB2_14 Depth=1
	v_lshlrev_b32_e32 v3, 2, v22
	ds_add_u32 v3, v23 offset:640
.LBB2_105:                              ;   in Loop: Header=BB2_14 Depth=1
	s_or_b32 exec_lo, exec_lo, s21
	s_mov_b32 s21, 1
                                        ; implicit-def: $vgpr23
                                        ; implicit-def: $vgpr22
.LBB2_106:                              ;   in Loop: Header=BB2_14 Depth=1
	s_or_saveexec_b32 s20, s20
	v_mov_b32_e32 v3, s21
	s_xor_b32 exec_lo, exec_lo, s20
; %bb.107:                              ;   in Loop: Header=BB2_14 Depth=1
	v_add_nc_u32_e32 v3, 1, v23
	v_mov_b32_e32 v1, v22
; %bb.108:                              ;   in Loop: Header=BB2_14 Depth=1
	s_or_b32 exec_lo, exec_lo, s20
	v_dual_max_f32 v5, v4, v4 :: v_dual_and_b32 v2, 0x7ff, v2
	s_delay_alu instid0(VALU_DEP_2) | instskip(NEXT) | instid1(VALU_DEP_2)
	v_dual_mov_b32 v22, v1 :: v_dual_mov_b32 v23, v3
	v_lshlrev_b32_e32 v2, 2, v2
	ds_add_u32 v2, v16 offset:8832
	v_max_f32_e32 v2, v21, v21
	s_delay_alu instid0(VALU_DEP_1) | instskip(NEXT) | instid1(VALU_DEP_1)
	v_dual_max_f32 v6, v20, v20 :: v_dual_min_f32 v21, v2, v5
	v_max_f32_e32 v20, v6, v5
.LBB2_109:                              ;   in Loop: Header=BB2_14 Depth=1
	s_or_b32 exec_lo, exec_lo, s1
	s_delay_alu instid0(SALU_CYCLE_1)
	s_mov_b32 s1, exec_lo
	v_cmpx_lt_i32_e32 0, v23
	s_cbranch_execz .LBB2_112
; %bb.110:                              ;   in Loop: Header=BB2_14 Depth=1
	s_waitcnt lgkmcnt(0)
	v_cmp_lt_f32_e32 vcc_lo, 0, v4
	v_xor_b32_e32 v1, 0x80000000, v4
	v_cndmask_b32_e64 v2, 0x7fffffff, 0, vcc_lo
	s_delay_alu instid0(VALU_DEP_1) | instskip(NEXT) | instid1(VALU_DEP_1)
	v_xor_b32_e32 v1, v2, v1
	v_lshrrev_b32_e32 v1, s18, v1
	s_delay_alu instid0(VALU_DEP_1) | instskip(NEXT) | instid1(VALU_DEP_1)
	v_and_b32_e32 v1, s41, v1
	v_cmp_ne_u32_e32 vcc_lo, v1, v22
	s_and_b32 exec_lo, exec_lo, vcc_lo
	s_cbranch_execz .LBB2_112
; %bb.111:                              ;   in Loop: Header=BB2_14 Depth=1
	v_lshlrev_b32_e32 v1, 2, v22
	ds_add_u32 v1, v23 offset:640
.LBB2_112:                              ;   in Loop: Header=BB2_14 Depth=1
	s_or_b32 exec_lo, exec_lo, s1
	v_mov_b32_dpp v1, v21 quad_perm:[1,0,3,2] row_mask:0xf bank_mask:0xf
	s_delay_alu instid0(VALU_DEP_1) | instskip(SKIP_1) | instid1(VALU_DEP_1)
	v_cmp_lt_f32_e32 vcc_lo, v21, v1
	v_cndmask_b32_e32 v1, v1, v21, vcc_lo
	v_mov_b32_dpp v2, v1 quad_perm:[2,3,0,1] row_mask:0xf bank_mask:0xf
	s_delay_alu instid0(VALU_DEP_1) | instskip(SKIP_1) | instid1(VALU_DEP_1)
	v_cmp_lt_f32_e32 vcc_lo, v1, v2
	v_cndmask_b32_e32 v1, v2, v1, vcc_lo
	v_mov_b32_dpp v2, v1 row_ror:4 row_mask:0xf bank_mask:0xf
	s_delay_alu instid0(VALU_DEP_1) | instskip(SKIP_1) | instid1(VALU_DEP_1)
	v_cmp_lt_f32_e32 vcc_lo, v1, v2
	v_cndmask_b32_e32 v1, v2, v1, vcc_lo
	v_mov_b32_dpp v2, v1 row_ror:8 row_mask:0xf bank_mask:0xf
	s_delay_alu instid0(VALU_DEP_1)
	v_cmp_lt_f32_e32 vcc_lo, v1, v2
	v_cndmask_b32_e32 v1, v2, v1, vcc_lo
	ds_swizzle_b32 v2, v1 offset:swizzle(BROADCAST,32,15)
	s_waitcnt lgkmcnt(0)
	v_cmp_lt_f32_e32 vcc_lo, v1, v2
	v_cndmask_b32_e32 v1, v2, v1, vcc_lo
	v_cmp_eq_u32_e32 vcc_lo, 0, v19
	ds_bpermute_b32 v1, v10, v1 offset:124
	s_and_saveexec_b32 s1, vcc_lo
	s_cbranch_execz .LBB2_114
; %bb.113:                              ;   in Loop: Header=BB2_14 Depth=1
	s_waitcnt lgkmcnt(0)
	ds_store_b32 v11, v1
.LBB2_114:                              ;   in Loop: Header=BB2_14 Depth=1
	s_or_b32 exec_lo, exec_lo, s1
	v_lshlrev_b32_e32 v2, 2, v19
	s_waitcnt lgkmcnt(0)
	s_waitcnt_vscnt null, 0x0
	s_barrier
	buffer_gl0_inv
	s_and_saveexec_b32 s20, s0
	s_cbranch_execz .LBB2_116
; %bb.115:                              ;   in Loop: Header=BB2_14 Depth=1
	ds_load_b32 v1, v2 offset:25472
	s_waitcnt lgkmcnt(0)
	v_mov_b32_dpp v3, v1 quad_perm:[1,0,3,2] row_mask:0xf bank_mask:0xf
	s_delay_alu instid0(VALU_DEP_1) | instskip(NEXT) | instid1(VALU_DEP_1)
	v_cmp_lt_f32_e64 s1, v1, v3
	v_cndmask_b32_e64 v1, v3, v1, s1
	s_delay_alu instid0(VALU_DEP_1) | instskip(NEXT) | instid1(VALU_DEP_1)
	v_mov_b32_dpp v3, v1 quad_perm:[2,3,0,1] row_mask:0xf bank_mask:0xf
	v_cmp_lt_f32_e64 s1, v1, v3
	s_delay_alu instid0(VALU_DEP_1) | instskip(NEXT) | instid1(VALU_DEP_1)
	v_cndmask_b32_e64 v1, v3, v1, s1
	v_mov_b32_dpp v3, v1 row_ror:4 row_mask:0xf bank_mask:0xf
	s_delay_alu instid0(VALU_DEP_1) | instskip(NEXT) | instid1(VALU_DEP_1)
	v_cmp_lt_f32_e64 s1, v1, v3
	v_cndmask_b32_e64 v1, v3, v1, s1
	s_delay_alu instid0(VALU_DEP_1) | instskip(NEXT) | instid1(VALU_DEP_1)
	v_mov_b32_dpp v3, v1 row_ror:8 row_mask:0xf bank_mask:0xf
	v_cmp_lt_f32_e64 s1, v1, v3
	s_delay_alu instid0(VALU_DEP_1) | instskip(SKIP_3) | instid1(VALU_DEP_1)
	v_cndmask_b32_e64 v1, v3, v1, s1
	ds_swizzle_b32 v3, v1 offset:swizzle(BROADCAST,32,15)
	s_waitcnt lgkmcnt(0)
	v_cmp_lt_f32_e64 s1, v1, v3
	v_cndmask_b32_e64 v1, v3, v1, s1
	ds_bpermute_b32 v1, v18, v1
.LBB2_116:                              ;   in Loop: Header=BB2_14 Depth=1
	s_or_b32 exec_lo, exec_lo, s20
	v_mov_b32_dpp v3, v20 quad_perm:[1,0,3,2] row_mask:0xf bank_mask:0xf
	s_delay_alu instid0(VALU_DEP_1) | instskip(NEXT) | instid1(VALU_DEP_1)
	v_cmp_gt_f32_e64 s1, v20, v3
	v_cndmask_b32_e64 v3, v3, v20, s1
	s_delay_alu instid0(VALU_DEP_1) | instskip(NEXT) | instid1(VALU_DEP_1)
	v_mov_b32_dpp v4, v3 quad_perm:[2,3,0,1] row_mask:0xf bank_mask:0xf
	v_cmp_gt_f32_e64 s1, v3, v4
	s_delay_alu instid0(VALU_DEP_1) | instskip(NEXT) | instid1(VALU_DEP_1)
	v_cndmask_b32_e64 v3, v4, v3, s1
	v_mov_b32_dpp v4, v3 row_ror:4 row_mask:0xf bank_mask:0xf
	s_delay_alu instid0(VALU_DEP_1) | instskip(NEXT) | instid1(VALU_DEP_1)
	v_cmp_gt_f32_e64 s1, v3, v4
	v_cndmask_b32_e64 v3, v4, v3, s1
	s_delay_alu instid0(VALU_DEP_1) | instskip(NEXT) | instid1(VALU_DEP_1)
	v_mov_b32_dpp v4, v3 row_ror:8 row_mask:0xf bank_mask:0xf
	v_cmp_gt_f32_e64 s1, v3, v4
	s_delay_alu instid0(VALU_DEP_1) | instskip(SKIP_3) | instid1(VALU_DEP_1)
	v_cndmask_b32_e64 v3, v4, v3, s1
	ds_swizzle_b32 v4, v3 offset:swizzle(BROADCAST,32,15)
	s_waitcnt lgkmcnt(0)
	v_cmp_gt_f32_e64 s1, v3, v4
	v_cndmask_b32_e64 v3, v4, v3, s1
	ds_bpermute_b32 v3, v18, v3
	s_and_saveexec_b32 s1, vcc_lo
	s_cbranch_execz .LBB2_118
; %bb.117:                              ;   in Loop: Header=BB2_14 Depth=1
	s_waitcnt lgkmcnt(0)
	ds_store_b32 v11, v3
.LBB2_118:                              ;   in Loop: Header=BB2_14 Depth=1
	s_or_b32 exec_lo, exec_lo, s1
	s_waitcnt lgkmcnt(0)
	s_barrier
	buffer_gl0_inv
	s_and_saveexec_b32 s1, s0
	s_cbranch_execz .LBB2_120
; %bb.119:                              ;   in Loop: Header=BB2_14 Depth=1
	ds_load_b32 v2, v2 offset:25472
	s_waitcnt lgkmcnt(0)
	v_mov_b32_dpp v3, v2 quad_perm:[1,0,3,2] row_mask:0xf bank_mask:0xf
	s_delay_alu instid0(VALU_DEP_1) | instskip(SKIP_1) | instid1(VALU_DEP_1)
	v_cmp_gt_f32_e32 vcc_lo, v2, v3
	v_cndmask_b32_e32 v2, v3, v2, vcc_lo
	v_mov_b32_dpp v3, v2 quad_perm:[2,3,0,1] row_mask:0xf bank_mask:0xf
	s_delay_alu instid0(VALU_DEP_1) | instskip(SKIP_1) | instid1(VALU_DEP_1)
	v_cmp_gt_f32_e32 vcc_lo, v2, v3
	v_cndmask_b32_e32 v2, v3, v2, vcc_lo
	v_mov_b32_dpp v3, v2 row_ror:4 row_mask:0xf bank_mask:0xf
	s_delay_alu instid0(VALU_DEP_1) | instskip(SKIP_1) | instid1(VALU_DEP_1)
	v_cmp_gt_f32_e32 vcc_lo, v2, v3
	v_cndmask_b32_e32 v2, v3, v2, vcc_lo
	v_mov_b32_dpp v3, v2 row_ror:8 row_mask:0xf bank_mask:0xf
	s_delay_alu instid0(VALU_DEP_1)
	v_cmp_gt_f32_e32 vcc_lo, v2, v3
	v_cndmask_b32_e32 v2, v3, v2, vcc_lo
	ds_swizzle_b32 v3, v2 offset:swizzle(BROADCAST,32,15)
	s_waitcnt lgkmcnt(0)
	v_cmp_gt_f32_e32 vcc_lo, v2, v3
	v_cndmask_b32_e32 v2, v3, v2, vcc_lo
	ds_bpermute_b32 v3, v18, v2
.LBB2_120:                              ;   in Loop: Header=BB2_14 Depth=1
	s_or_b32 exec_lo, exec_lo, s1
	s_and_saveexec_b32 s1, s3
	s_cbranch_execz .LBB2_122
; %bb.121:                              ;   in Loop: Header=BB2_14 Depth=1
	v_cmp_gt_f32_e32 vcc_lo, 0, v1
	v_cndmask_b32_e64 v2, 0x7ffff800, 0, vcc_lo
	s_waitcnt lgkmcnt(0)
	v_cmp_gt_f32_e32 vcc_lo, 0, v3
	v_cndmask_b32_e64 v4, 0x7ffff800, 0, vcc_lo
	s_delay_alu instid0(VALU_DEP_1) | instskip(NEXT) | instid1(VALU_DEP_1)
	v_xor_b32_e32 v2, v2, v4
	v_xor3_b32 v1, v2, v1, v3
	s_delay_alu instid0(VALU_DEP_1)
	v_cmp_gt_u32_e32 vcc_lo, 0x800, v1
	v_cndmask_b32_e64 v1, 0, 1, vcc_lo
	ds_store_b8 v10, v1 offset:25600
.LBB2_122:                              ;   in Loop: Header=BB2_14 Depth=1
	s_or_b32 exec_lo, exec_lo, s1
	s_waitcnt lgkmcnt(0)
	s_barrier
	buffer_gl0_inv
	ds_load_u8 v1, v10 offset:25600
	s_waitcnt lgkmcnt(0)
	v_readfirstlane_b32 s1, v1
	s_delay_alu instid0(VALU_DEP_1)
	s_bitcmp1_b32 s1, 0
	s_cselect_b32 s22, -1, 0
.LBB2_123:                              ;   in Loop: Header=BB2_14 Depth=1
	s_delay_alu instid0(SALU_CYCLE_1)
	s_and_b32 s1, s22, exec_lo
	s_cselect_b32 s1, 0x800, 0
	s_waitcnt lgkmcnt(0)
	s_waitcnt_vscnt null, 0x0
	v_or_b32_e32 v1, s1, v0
	v_mov_b32_e32 v2, s19
	s_barrier
	buffer_gl0_inv
	v_dual_mov_b32 v4, s19 :: v_dual_lshlrev_b32 v3, 2, v1
	s_delay_alu instid0(VALU_DEP_1)
	v_add_nc_u32_e32 v1, 0x280, v3
	v_add_nc_u32_e32 v3, 0x1280, v3
	flat_load_b32 v5, v[1:2] glc dlc
	s_waitcnt vmcnt(0)
	flat_load_b32 v6, v[3:4] glc dlc
	s_waitcnt vmcnt(0) lgkmcnt(1)
	ds_store_b32 v7, v5
	s_waitcnt lgkmcnt(1)
	ds_store_b32 v8, v6 offset:4096
	s_waitcnt lgkmcnt(0)
	s_barrier
	buffer_gl0_inv
	ds_load_2addr_b32 v[5:6], v9 offset1:1
	s_waitcnt lgkmcnt(0)
	s_barrier
	buffer_gl0_inv
	v_add_nc_u32_e32 v20, v6, v5
	ds_store_b32 v7, v20
	s_waitcnt lgkmcnt(0)
	s_barrier
	buffer_gl0_inv
	s_and_saveexec_b32 s20, s0
	s_cbranch_execz .LBB2_125
; %bb.124:                              ;   in Loop: Header=BB2_14 Depth=1
	ds_load_2addr_b32 v[21:22], v12 offset1:1
	ds_load_2addr_b32 v[23:24], v12 offset0:2 offset1:3
	ds_load_2addr_b32 v[25:26], v12 offset0:4 offset1:5
	;; [unrolled: 1-line block ×4, first 2 shown]
	s_waitcnt lgkmcnt(4)
	v_add_nc_u32_e32 v22, v22, v21
	s_waitcnt lgkmcnt(3)
	s_delay_alu instid0(VALU_DEP_1)
	v_add3_u32 v24, v22, v23, v24
	ds_load_2addr_b32 v[22:23], v12 offset0:10 offset1:11
	s_waitcnt lgkmcnt(3)
	v_add3_u32 v26, v24, v25, v26
	ds_load_2addr_b32 v[24:25], v12 offset0:12 offset1:13
	s_waitcnt lgkmcnt(3)
	;; [unrolled: 3-line block ×9, first 2 shown]
	v_add3_u32 v32, v30, v24, v25
	ds_load_2addr_b32 v[24:25], v12 offset0:28 offset1:29
	ds_load_2addr_b32 v[30:31], v12 offset0:30 offset1:31
	; wave barrier
	s_waitcnt lgkmcnt(4)
	v_add3_u32 v26, v32, v26, v27
	s_waitcnt lgkmcnt(3)
	s_delay_alu instid0(VALU_DEP_1) | instskip(SKIP_1) | instid1(VALU_DEP_1)
	v_add3_u32 v26, v26, v28, v29
	s_waitcnt lgkmcnt(2)
	v_add3_u32 v22, v26, v22, v23
	s_waitcnt lgkmcnt(1)
	s_delay_alu instid0(VALU_DEP_1) | instskip(SKIP_2) | instid1(VALU_DEP_2)
	v_add3_u32 v22, v22, v24, v25
	v_bfe_i32 v25, v19, 4, 1
	s_waitcnt lgkmcnt(0)
	v_add3_u32 v22, v22, v30, v31
	s_delay_alu instid0(VALU_DEP_1) | instskip(SKIP_1) | instid1(VALU_DEP_1)
	v_mov_b32_dpp v24, v22 row_shr:1 row_mask:0xf bank_mask:0xf
	v_and_b32_e32 v23, 15, v19
	v_cmp_ne_u32_e32 vcc_lo, 0, v23
	s_delay_alu instid0(VALU_DEP_3) | instskip(SKIP_1) | instid1(VALU_DEP_2)
	v_cndmask_b32_e32 v24, 0, v24, vcc_lo
	v_cmp_lt_u32_e32 vcc_lo, 1, v23
	v_add_nc_u32_e32 v22, v24, v22
	s_delay_alu instid0(VALU_DEP_1) | instskip(NEXT) | instid1(VALU_DEP_1)
	v_mov_b32_dpp v24, v22 row_shr:2 row_mask:0xf bank_mask:0xf
	v_cndmask_b32_e32 v24, 0, v24, vcc_lo
	v_cmp_lt_u32_e32 vcc_lo, 3, v23
	s_delay_alu instid0(VALU_DEP_2) | instskip(NEXT) | instid1(VALU_DEP_1)
	v_add_nc_u32_e32 v22, v22, v24
	v_mov_b32_dpp v24, v22 row_shr:4 row_mask:0xf bank_mask:0xf
	s_delay_alu instid0(VALU_DEP_1) | instskip(SKIP_1) | instid1(VALU_DEP_2)
	v_cndmask_b32_e32 v24, 0, v24, vcc_lo
	v_cmp_lt_u32_e32 vcc_lo, 7, v23
	v_add_nc_u32_e32 v22, v22, v24
	s_delay_alu instid0(VALU_DEP_1) | instskip(NEXT) | instid1(VALU_DEP_1)
	v_mov_b32_dpp v24, v22 row_shr:8 row_mask:0xf bank_mask:0xf
	v_dual_cndmask_b32 v23, 0, v24 :: v_dual_add_nc_u32 v24, -1, v19
	s_delay_alu instid0(VALU_DEP_1) | instskip(NEXT) | instid1(VALU_DEP_2)
	v_add_nc_u32_e32 v22, v22, v23
	v_cmp_gt_i32_e32 vcc_lo, 0, v24
	ds_swizzle_b32 v23, v22 offset:swizzle(BROADCAST,32,15)
	v_cndmask_b32_e32 v24, v24, v19, vcc_lo
	s_delay_alu instid0(VALU_DEP_1) | instskip(SKIP_2) | instid1(VALU_DEP_1)
	v_lshlrev_b32_e32 v24, 2, v24
	s_waitcnt lgkmcnt(0)
	v_and_b32_e32 v23, v25, v23
	v_add_nc_u32_e32 v22, v22, v23
	ds_bpermute_b32 v22, v24, v22
	s_waitcnt lgkmcnt(0)
	v_add_nc_u32_e32 v21, v22, v21
	s_delay_alu instid0(VALU_DEP_1)
	v_cndmask_b32_e64 v29, v21, v20, s3
	ds_store_b32 v12, v29
	; wave barrier
	ds_load_2addr_b32 v[21:22], v12 offset0:1 offset1:2
	ds_load_2addr_b32 v[23:24], v12 offset0:3 offset1:4
	;; [unrolled: 1-line block ×4, first 2 shown]
	s_waitcnt lgkmcnt(3)
	v_add_nc_u32_e32 v29, v21, v29
	s_delay_alu instid0(VALU_DEP_1) | instskip(SKIP_3) | instid1(VALU_DEP_1)
	v_add_nc_u32_e32 v30, v22, v29
	ds_load_2addr_b32 v[21:22], v12 offset0:9 offset1:10
	s_waitcnt lgkmcnt(3)
	v_add_nc_u32_e32 v31, v23, v30
	v_add_nc_u32_e32 v32, v24, v31
	ds_load_2addr_b32 v[23:24], v12 offset0:11 offset1:12
	s_waitcnt lgkmcnt(3)
	v_add_nc_u32_e32 v33, v25, v32
	s_delay_alu instid0(VALU_DEP_1) | instskip(SKIP_1) | instid1(VALU_DEP_1)
	v_add_nc_u32_e32 v34, v26, v33
	s_waitcnt lgkmcnt(2)
	v_add_nc_u32_e32 v35, v27, v34
	s_delay_alu instid0(VALU_DEP_1) | instskip(SKIP_4) | instid1(VALU_DEP_1)
	v_add_nc_u32_e32 v36, v28, v35
	ds_load_2addr_b32 v[25:26], v12 offset0:13 offset1:14
	ds_load_2addr_b32 v[27:28], v12 offset0:15 offset1:16
	s_waitcnt lgkmcnt(3)
	v_add_nc_u32_e32 v37, v21, v36
	v_add_nc_u32_e32 v38, v22, v37
	ds_load_2addr_b32 v[21:22], v12 offset0:17 offset1:18
	s_waitcnt lgkmcnt(3)
	v_add_nc_u32_e32 v39, v23, v38
	s_delay_alu instid0(VALU_DEP_1) | instskip(SKIP_3) | instid1(VALU_DEP_1)
	v_add_nc_u32_e32 v40, v24, v39
	ds_load_2addr_b32 v[23:24], v12 offset0:19 offset1:20
	s_waitcnt lgkmcnt(3)
	v_add_nc_u32_e32 v41, v25, v40
	v_add_nc_u32_e32 v42, v26, v41
	s_waitcnt lgkmcnt(2)
	s_delay_alu instid0(VALU_DEP_1) | instskip(NEXT) | instid1(VALU_DEP_1)
	v_add_nc_u32_e32 v43, v27, v42
	v_add_nc_u32_e32 v44, v28, v43
	ds_load_2addr_b32 v[25:26], v12 offset0:21 offset1:22
	ds_load_2addr_b32 v[27:28], v12 offset0:23 offset1:24
	s_waitcnt lgkmcnt(3)
	v_add_nc_u32_e32 v45, v21, v44
	s_delay_alu instid0(VALU_DEP_1) | instskip(SKIP_3) | instid1(VALU_DEP_1)
	v_add_nc_u32_e32 v46, v22, v45
	ds_load_2addr_b32 v[21:22], v12 offset0:25 offset1:26
	s_waitcnt lgkmcnt(3)
	v_add_nc_u32_e32 v47, v23, v46
	v_add_nc_u32_e32 v48, v24, v47
	ds_load_2addr_b32 v[23:24], v12 offset0:27 offset1:28
	s_waitcnt lgkmcnt(3)
	v_add_nc_u32_e32 v49, v25, v48
	s_delay_alu instid0(VALU_DEP_1)
	v_add_nc_u32_e32 v50, v26, v49
	ds_load_2addr_b32 v[25:26], v12 offset0:29 offset1:30
	ds_load_b32 v51, v12 offset:124
	ds_store_2addr_b32 v12, v29, v30 offset0:1 offset1:2
	ds_store_2addr_b32 v12, v31, v32 offset0:3 offset1:4
	ds_store_2addr_b32 v12, v33, v34 offset0:5 offset1:6
	ds_store_2addr_b32 v12, v35, v36 offset0:7 offset1:8
	ds_store_2addr_b32 v12, v37, v38 offset0:9 offset1:10
	ds_store_2addr_b32 v12, v39, v40 offset0:11 offset1:12
	ds_store_2addr_b32 v12, v41, v42 offset0:13 offset1:14
	ds_store_2addr_b32 v12, v43, v44 offset0:15 offset1:16
	s_waitcnt lgkmcnt(12)
	v_add_nc_u32_e32 v27, v27, v50
	s_delay_alu instid0(VALU_DEP_1) | instskip(SKIP_1) | instid1(VALU_DEP_1)
	v_add_nc_u32_e32 v28, v28, v27
	s_waitcnt lgkmcnt(11)
	v_add_nc_u32_e32 v21, v21, v28
	s_delay_alu instid0(VALU_DEP_1) | instskip(SKIP_1) | instid1(VALU_DEP_1)
	v_add_nc_u32_e32 v22, v22, v21
	;; [unrolled: 4-line block ×4, first 2 shown]
	s_waitcnt lgkmcnt(8)
	v_add_nc_u32_e32 v29, v51, v26
	ds_store_2addr_b32 v12, v45, v46 offset0:17 offset1:18
	ds_store_2addr_b32 v12, v47, v48 offset0:19 offset1:20
	;; [unrolled: 1-line block ×7, first 2 shown]
	ds_store_b32 v12, v29 offset:124
.LBB2_125:                              ;   in Loop: Header=BB2_14 Depth=1
	s_or_b32 exec_lo, exec_lo, s20
	v_mov_b32_e32 v21, v20
	s_waitcnt lgkmcnt(0)
	s_barrier
	buffer_gl0_inv
	s_and_saveexec_b32 s20, s2
	s_cbranch_execz .LBB2_127
; %bb.126:                              ;   in Loop: Header=BB2_14 Depth=1
	ds_load_b32 v21, v13
.LBB2_127:                              ;   in Loop: Header=BB2_14 Depth=1
	s_or_b32 exec_lo, exec_lo, s20
	s_and_saveexec_b32 s20, s2
	s_cbranch_execz .LBB2_129
; %bb.128:                              ;   in Loop: Header=BB2_14 Depth=1
	s_waitcnt lgkmcnt(0)
	v_add_nc_u32_e32 v5, v21, v5
	;;#ASMSTART
	;;#ASMEND
	s_delay_alu instid0(VALU_DEP_1)
	v_add_nc_u32_e32 v20, v5, v6
.LBB2_129:                              ;   in Loop: Header=BB2_14 Depth=1
	s_or_b32 exec_lo, exec_lo, s20
	s_waitcnt lgkmcnt(0)
	s_barrier
	buffer_gl0_inv
	ds_store_2addr_b32 v9, v5, v20 offset1:1
	s_waitcnt lgkmcnt(0)
	s_barrier
	buffer_gl0_inv
	ds_load_b32 v5, v7
	ds_load_b32 v6, v8 offset:4096
	s_and_b32 s20, s22, exec_lo
	s_cselect_b32 s20, 3, 0
	s_waitcnt lgkmcnt(1)
	flat_store_b32 v[1:2], v5 dlc
	s_waitcnt_vscnt null, 0x0
	s_waitcnt lgkmcnt(1)
	flat_store_b32 v[3:4], v6 dlc
	s_waitcnt_vscnt null, 0x0
	s_waitcnt lgkmcnt(0)
	s_barrier
	buffer_gl0_inv
	ds_load_b32 v1, v10 offset:12
	s_add_i32 s20, s20, s38
	v_lshl_add_u32 v2, s1, 2, v15
	s_mul_i32 s20, s20, -11
	v_mov_b32_e32 v3, v0
	s_max_i32 s21, s20, 0xffffffeb
	s_mov_b32 s20, 0
	s_add_i32 s21, s21, 21
	s_set_inst_prefetch_distance 0x1
	s_branch .LBB2_131
	.p2align	6
.LBB2_130:                              ;   in Loop: Header=BB2_131 Depth=2
	s_or_b32 exec_lo, exec_lo, s1
	v_add_nc_u32_e32 v3, s31, v3
	v_add_nc_u32_e32 v2, s39, v2
	s_delay_alu instid0(VALU_DEP_2) | instskip(SKIP_1) | instid1(SALU_CYCLE_1)
	v_cmp_lt_u32_e32 vcc_lo, 0x7ff, v3
	s_or_b32 s20, vcc_lo, s20
	s_and_not1_b32 exec_lo, exec_lo, s20
	s_cbranch_execz .LBB2_135
.LBB2_131:                              ;   Parent Loop BB2_14 Depth=1
                                        ; =>  This Inner Loop Header: Depth=2
	v_mov_b32_e32 v4, 0
	s_mov_b32 s1, exec_lo
	v_cmpx_ne_u32_e32 0, v3
	s_cbranch_execz .LBB2_133
; %bb.132:                              ;   in Loop: Header=BB2_131 Depth=2
	ds_load_b32 v4, v2
.LBB2_133:                              ;   in Loop: Header=BB2_131 Depth=2
	s_or_b32 exec_lo, exec_lo, s1
	ds_load_b32 v5, v2 offset:4
	s_waitcnt lgkmcnt(1)
	v_cmp_gt_i32_e32 vcc_lo, s40, v4
	s_waitcnt lgkmcnt(0)
	v_cmp_le_i32_e64 s1, s40, v5
	s_delay_alu instid0(VALU_DEP_1) | instskip(NEXT) | instid1(SALU_CYCLE_1)
	s_and_b32 s23, vcc_lo, s1
	s_and_saveexec_b32 s1, s23
	s_cbranch_execz .LBB2_130
; %bb.134:                              ;   in Loop: Header=BB2_131 Depth=2
	v_sub_nc_u32_e32 v20, s40, v4
	v_sub_nc_u32_e32 v21, v5, v4
	v_lshl_or_b32 v1, v3, s21, v1
	ds_store_b64 v10, v[20:21]
	ds_store_b32 v10, v1 offset:12
	s_branch .LBB2_130
.LBB2_135:                              ;   in Loop: Header=BB2_14 Depth=1
	s_set_inst_prefetch_distance 0x2
	s_or_b32 exec_lo, exec_lo, s20
	s_and_saveexec_b32 s1, s3
	s_cbranch_execz .LBB2_137
; %bb.136:                              ;   in Loop: Header=BB2_14 Depth=1
	v_mov_b32_e32 v1, s34
	ds_store_b32 v10, v1 offset:8
.LBB2_137:                              ;   in Loop: Header=BB2_14 Depth=1
	s_or_b32 exec_lo, exec_lo, s1
	s_cmp_lg_u32 s38, 2
	s_waitcnt lgkmcnt(0)
	s_cselect_b32 s1, -1, 0
	s_xor_b32 s20, s22, -1
	s_barrier
	s_and_b32 s20, s1, s20
	s_mov_b32 s1, -1
	s_and_b32 vcc_lo, exec_lo, s20
	s_mov_b32 s20, -1
	buffer_gl0_inv
                                        ; implicit-def: $vgpr1
	s_cbranch_vccz .LBB2_13
; %bb.138:                              ;   in Loop: Header=BB2_14 Depth=1
	ds_load_b64 v[1:2], v10
	s_add_i32 s38, s38, 1
	s_mov_b32 s1, 0
	s_waitcnt lgkmcnt(0)
	v_cmp_eq_u32_e64 s20, v2, v1
	s_branch .LBB2_13
.LBB2_139:
	s_and_not1_b32 vcc_lo, exec_lo, s1
	s_mov_b32 s0, -1
	s_cbranch_vccz .LBB2_176
; %bb.140:
	v_mov_b32_e32 v2, 0
	s_cmp_eq_u64 s[6:7], 0
	s_cselect_b32 s8, s33, s34
	s_cselect_b32 s3, s5, s36
	ds_load_b32 v5, v2 offset:12
	v_cmp_gt_i32_e64 s0, s8, v0
	s_cselect_b32 s2, s4, s35
	s_cselect_b32 s1, s11, s7
	;; [unrolled: 1-line block ×3, first 2 shown]
	s_cmp_eq_u64 s[2:3], 0
	s_cbranch_scc1 .LBB2_156
; %bb.141:
	s_and_saveexec_b32 s12, s0
	s_cbranch_execz .LBB2_155
; %bb.142:
	v_mov_b32_e32 v6, 0
	v_mov_b32_e32 v2, v0
	s_lshl_b32 s13, -1, s18
	s_mov_b32 s14, 0
	s_branch .LBB2_145
.LBB2_143:                              ;   in Loop: Header=BB2_145 Depth=1
	s_or_b32 exec_lo, exec_lo, s16
	s_waitcnt vmcnt(0)
	v_add_co_u32 v3, vcc_lo, s2, v3
	v_add_co_ci_u32_e32 v4, vcc_lo, s3, v4, vcc_lo
	s_waitcnt lgkmcnt(0)
	v_readfirstlane_b32 s16, v9
	flat_load_b32 v10, v[3:4]
	v_add_nc_u32_e32 v3, s16, v8
	s_delay_alu instid0(VALU_DEP_1) | instskip(NEXT) | instid1(VALU_DEP_1)
	v_ashrrev_i32_e32 v4, 31, v3
	v_lshlrev_b64 v[3:4], 2, v[3:4]
	s_delay_alu instid0(VALU_DEP_1) | instskip(NEXT) | instid1(VALU_DEP_2)
	v_add_co_u32 v8, vcc_lo, s27, v3
	v_add_co_ci_u32_e32 v9, vcc_lo, s28, v4, vcc_lo
	v_add_co_u32 v3, vcc_lo, s29, v3
	v_add_co_ci_u32_e32 v4, vcc_lo, s30, v4, vcc_lo
	global_store_b32 v[8:9], v7, off
	s_waitcnt vmcnt(0) lgkmcnt(0)
	global_store_b32 v[3:4], v10, off
.LBB2_144:                              ;   in Loop: Header=BB2_145 Depth=1
	s_or_b32 exec_lo, exec_lo, s15
	v_add_nc_u32_e32 v2, s31, v2
	s_delay_alu instid0(VALU_DEP_1) | instskip(SKIP_1) | instid1(SALU_CYCLE_1)
	v_cmp_le_i32_e32 vcc_lo, s8, v2
	s_or_b32 s14, vcc_lo, s14
	s_and_not1_b32 exec_lo, exec_lo, s14
	s_cbranch_execz .LBB2_155
.LBB2_145:                              ; =>This Inner Loop Header: Depth=1
	s_waitcnt vmcnt(0)
	v_ashrrev_i32_e32 v3, 31, v2
	s_mov_b32 s15, exec_lo
	s_delay_alu instid0(VALU_DEP_1) | instskip(NEXT) | instid1(VALU_DEP_1)
	v_lshlrev_b64 v[3:4], 2, v[2:3]
	v_add_co_u32 v7, vcc_lo, s9, v3
	s_delay_alu instid0(VALU_DEP_2) | instskip(SKIP_4) | instid1(VALU_DEP_1)
	v_add_co_ci_u32_e32 v8, vcc_lo, s1, v4, vcc_lo
	flat_load_b32 v7, v[7:8]
	s_waitcnt vmcnt(0) lgkmcnt(0)
	v_cmp_gt_f32_e32 vcc_lo, 0, v7
	v_cndmask_b32_e64 v8, 0x7fffffff, 0, vcc_lo
	v_xor_b32_e32 v8, v8, v7
	s_delay_alu instid0(VALU_DEP_1) | instskip(NEXT) | instid1(VALU_DEP_1)
	v_and_b32_e32 v8, s13, v8
	v_cmpx_ge_u32_e64 v8, v5
	s_xor_b32 s15, exec_lo, s15
	s_cbranch_execz .LBB2_152
; %bb.146:                              ;   in Loop: Header=BB2_145 Depth=1
	s_mov_b32 s16, exec_lo
	v_cmpx_eq_u32_e64 v8, v5
	s_cbranch_execz .LBB2_151
; %bb.147:                              ;   in Loop: Header=BB2_145 Depth=1
	v_add_co_u32 v3, vcc_lo, s2, v3
	v_add_co_ci_u32_e32 v4, vcc_lo, s3, v4, vcc_lo
	s_mov_b32 s17, exec_lo
	s_mov_b32 s19, exec_lo
                                        ; implicit-def: $vgpr8
	flat_load_b32 v3, v[3:4]
	v_mbcnt_lo_u32_b32 v4, s17, 0
	s_delay_alu instid0(VALU_DEP_1)
	v_cmpx_eq_u32_e32 0, v4
	s_cbranch_execz .LBB2_149
; %bb.148:                              ;   in Loop: Header=BB2_145 Depth=1
	s_bcnt1_i32_b32 s17, s17
	s_delay_alu instid0(SALU_CYCLE_1)
	v_mov_b32_e32 v8, s17
	ds_add_rtn_u32 v8, v6, v8 offset:512
.LBB2_149:                              ;   in Loop: Header=BB2_145 Depth=1
	s_or_b32 exec_lo, exec_lo, s19
	s_waitcnt lgkmcnt(0)
	v_readfirstlane_b32 s17, v8
	s_delay_alu instid0(VALU_DEP_1) | instskip(NEXT) | instid1(VALU_DEP_1)
	v_add_nc_u32_e32 v4, s17, v4
	v_cmp_lt_i32_e32 vcc_lo, v4, v1
	s_and_b32 exec_lo, exec_lo, vcc_lo
	s_cbranch_execz .LBB2_151
; %bb.150:                              ;   in Loop: Header=BB2_145 Depth=1
	v_xad_u32 v8, v4, -1, s26
	s_delay_alu instid0(VALU_DEP_1) | instskip(NEXT) | instid1(VALU_DEP_1)
	v_ashrrev_i32_e32 v9, 31, v8
	v_lshlrev_b64 v[8:9], 2, v[8:9]
	s_delay_alu instid0(VALU_DEP_1) | instskip(NEXT) | instid1(VALU_DEP_2)
	v_add_co_u32 v10, vcc_lo, s27, v8
	v_add_co_ci_u32_e32 v11, vcc_lo, s28, v9, vcc_lo
	v_add_co_u32 v8, vcc_lo, s29, v8
	v_add_co_ci_u32_e32 v9, vcc_lo, s30, v9, vcc_lo
	global_store_b32 v[10:11], v7, off
	s_waitcnt vmcnt(0)
	global_store_b32 v[8:9], v3, off
.LBB2_151:                              ;   in Loop: Header=BB2_145 Depth=1
	s_or_b32 exec_lo, exec_lo, s16
                                        ; implicit-def: $vgpr7
                                        ; implicit-def: $vgpr3_vgpr4
.LBB2_152:                              ;   in Loop: Header=BB2_145 Depth=1
	s_and_not1_saveexec_b32 s15, s15
	s_cbranch_execz .LBB2_144
; %bb.153:                              ;   in Loop: Header=BB2_145 Depth=1
	s_mov_b32 s17, exec_lo
	s_mov_b32 s16, exec_lo
	v_mbcnt_lo_u32_b32 v8, s17, 0
                                        ; implicit-def: $vgpr9
	s_delay_alu instid0(VALU_DEP_1)
	v_cmpx_eq_u32_e32 0, v8
	s_cbranch_execz .LBB2_143
; %bb.154:                              ;   in Loop: Header=BB2_145 Depth=1
	s_bcnt1_i32_b32 s17, s17
	s_delay_alu instid0(SALU_CYCLE_1)
	v_mov_b32_e32 v9, s17
	ds_add_rtn_u32 v9, v6, v9 offset:384
	s_branch .LBB2_143
.LBB2_155:
	s_or_b32 exec_lo, exec_lo, s12
	s_cbranch_execz .LBB2_157
	s_branch .LBB2_175
.LBB2_156:
.LBB2_157:
	s_and_saveexec_b32 s2, s0
	s_cbranch_execz .LBB2_174
; %bb.158:
	v_mov_b32_e32 v6, 0
	v_mov_b32_e32 v2, v0
	s_lshl_b32 s0, -1, s18
	s_mov_b32 s3, 0
	s_branch .LBB2_160
.LBB2_159:                              ;   in Loop: Header=BB2_160 Depth=1
	s_or_b32 exec_lo, exec_lo, s12
	v_add_nc_u32_e32 v2, s31, v2
	s_delay_alu instid0(VALU_DEP_1) | instskip(SKIP_1) | instid1(SALU_CYCLE_1)
	v_cmp_le_i32_e32 vcc_lo, s8, v2
	s_or_b32 s3, vcc_lo, s3
	s_and_not1_b32 exec_lo, exec_lo, s3
	s_cbranch_execz .LBB2_174
.LBB2_160:                              ; =>This Inner Loop Header: Depth=1
	s_waitcnt vmcnt(0)
	v_ashrrev_i32_e32 v3, 31, v2
	s_mov_b32 s13, 0
	s_mov_b32 s12, exec_lo
	s_delay_alu instid0(VALU_DEP_1) | instskip(NEXT) | instid1(VALU_DEP_1)
	v_lshlrev_b64 v[3:4], 2, v[2:3]
	v_add_co_u32 v3, vcc_lo, s9, v3
	s_delay_alu instid0(VALU_DEP_2) | instskip(SKIP_4) | instid1(VALU_DEP_1)
	v_add_co_ci_u32_e32 v4, vcc_lo, s1, v4, vcc_lo
	flat_load_b32 v7, v[3:4]
	s_waitcnt vmcnt(0) lgkmcnt(0)
	v_cmp_gt_f32_e32 vcc_lo, 0, v7
	v_cndmask_b32_e64 v3, 0x7fffffff, 0, vcc_lo
	v_xor_b32_e32 v3, v3, v7
	s_delay_alu instid0(VALU_DEP_1) | instskip(NEXT) | instid1(VALU_DEP_1)
	v_and_b32_e32 v4, s0, v3
                                        ; implicit-def: $vgpr3
	v_cmpx_ge_u32_e64 v4, v5
	s_xor_b32 s12, exec_lo, s12
	s_cbranch_execnz .LBB2_163
; %bb.161:                              ;   in Loop: Header=BB2_160 Depth=1
	s_and_not1_saveexec_b32 s12, s12
	s_cbranch_execnz .LBB2_170
.LBB2_162:                              ;   in Loop: Header=BB2_160 Depth=1
	s_or_b32 exec_lo, exec_lo, s12
	s_and_saveexec_b32 s12, s13
	s_cbranch_execz .LBB2_159
	s_branch .LBB2_173
.LBB2_163:                              ;   in Loop: Header=BB2_160 Depth=1
	s_mov_b32 s14, 0
	s_mov_b32 s13, exec_lo
                                        ; implicit-def: $vgpr3
	v_cmpx_eq_u32_e64 v4, v5
	s_cbranch_execz .LBB2_169
; %bb.164:                              ;   in Loop: Header=BB2_160 Depth=1
	s_mov_b32 s15, exec_lo
	s_mov_b32 s14, exec_lo
	v_mbcnt_lo_u32_b32 v3, s15, 0
                                        ; implicit-def: $vgpr4
	s_delay_alu instid0(VALU_DEP_1)
	v_cmpx_eq_u32_e32 0, v3
	s_cbranch_execz .LBB2_166
; %bb.165:                              ;   in Loop: Header=BB2_160 Depth=1
	s_bcnt1_i32_b32 s15, s15
	s_delay_alu instid0(SALU_CYCLE_1)
	v_mov_b32_e32 v4, s15
	ds_add_rtn_u32 v4, v6, v4 offset:512
.LBB2_166:                              ;   in Loop: Header=BB2_160 Depth=1
	s_or_b32 exec_lo, exec_lo, s14
	s_waitcnt lgkmcnt(0)
	v_readfirstlane_b32 s14, v4
	s_mov_b32 s15, exec_lo
	s_delay_alu instid0(VALU_DEP_1) | instskip(SKIP_1) | instid1(VALU_DEP_1)
	v_add_nc_u32_e32 v4, s14, v3
	s_mov_b32 s14, 0
                                        ; implicit-def: $vgpr3
	v_cmpx_lt_i32_e64 v4, v1
	s_xor_b32 s15, exec_lo, s15
; %bb.167:                              ;   in Loop: Header=BB2_160 Depth=1
	v_xad_u32 v3, v4, -1, s26
	s_mov_b32 s14, exec_lo
; %bb.168:                              ;   in Loop: Header=BB2_160 Depth=1
	s_or_b32 exec_lo, exec_lo, s15
	s_delay_alu instid0(SALU_CYCLE_1)
	s_and_b32 s14, s14, exec_lo
.LBB2_169:                              ;   in Loop: Header=BB2_160 Depth=1
	s_or_b32 exec_lo, exec_lo, s13
	s_delay_alu instid0(SALU_CYCLE_1)
	s_and_b32 s13, s14, exec_lo
	s_and_not1_saveexec_b32 s12, s12
	s_cbranch_execz .LBB2_162
.LBB2_170:                              ;   in Loop: Header=BB2_160 Depth=1
	s_mov_b32 s15, exec_lo
	s_mov_b32 s14, exec_lo
	v_mbcnt_lo_u32_b32 v3, s15, 0
                                        ; implicit-def: $vgpr4
	s_delay_alu instid0(VALU_DEP_1)
	v_cmpx_eq_u32_e32 0, v3
	s_cbranch_execz .LBB2_172
; %bb.171:                              ;   in Loop: Header=BB2_160 Depth=1
	s_bcnt1_i32_b32 s15, s15
	s_delay_alu instid0(SALU_CYCLE_1)
	v_mov_b32_e32 v4, s15
	ds_add_rtn_u32 v4, v6, v4 offset:384
.LBB2_172:                              ;   in Loop: Header=BB2_160 Depth=1
	s_or_b32 exec_lo, exec_lo, s14
	s_waitcnt lgkmcnt(0)
	v_readfirstlane_b32 s14, v4
	s_or_b32 s13, s13, exec_lo
	s_delay_alu instid0(VALU_DEP_1)
	v_add_nc_u32_e32 v3, s14, v3
	s_or_b32 exec_lo, exec_lo, s12
	s_and_saveexec_b32 s12, s13
	s_cbranch_execz .LBB2_159
.LBB2_173:                              ;   in Loop: Header=BB2_160 Depth=1
	s_delay_alu instid0(VALU_DEP_1) | instskip(NEXT) | instid1(VALU_DEP_1)
	v_ashrrev_i32_e32 v4, 31, v3
	v_lshlrev_b64 v[3:4], 2, v[3:4]
	s_delay_alu instid0(VALU_DEP_1) | instskip(NEXT) | instid1(VALU_DEP_2)
	v_add_co_u32 v8, vcc_lo, s27, v3
	v_add_co_ci_u32_e32 v9, vcc_lo, s28, v4, vcc_lo
	v_add_co_u32 v3, vcc_lo, s29, v3
	v_add_co_ci_u32_e32 v4, vcc_lo, s30, v4, vcc_lo
	global_store_b32 v[8:9], v7, off
	global_store_b32 v[3:4], v2, off
	s_branch .LBB2_159
.LBB2_174:
	s_or_b32 exec_lo, exec_lo, s2
.LBB2_175:
	s_mov_b32 s0, 0
.LBB2_176:
	s_delay_alu instid0(SALU_CYCLE_1)
	s_and_not1_b32 vcc_lo, exec_lo, s0
	s_cbranch_vccnz .LBB2_219
; %bb.177:
	v_mov_b32_e32 v1, 0
	s_xor_b32 s8, s22, -1
	s_cmp_eq_u64 s[6:7], 0
	s_cselect_b32 s3, s5, s36
	s_waitcnt vmcnt(0)
	ds_load_2addr_b32 v[2:3], v1 offset1:3
	s_cselect_b32 s5, s33, s34
	s_cselect_b32 s2, s4, s35
	v_cmp_gt_i32_e64 s0, s5, v0
	s_cselect_b32 s7, s11, s7
	s_cselect_b32 s4, s10, s6
	s_cmp_eq_u64 s[2:3], 0
	s_cbranch_scc1 .LBB2_197
; %bb.178:
	s_and_saveexec_b32 s6, s0
	s_cbranch_execz .LBB2_196
; %bb.179:
	v_dual_mov_b32 v1, 0 :: v_dual_mov_b32 v4, v0
	s_lshl_b32 s9, -1, s18
	s_mov_b32 s10, 0
	s_branch .LBB2_182
.LBB2_180:                              ;   in Loop: Header=BB2_182 Depth=1
	s_or_b32 exec_lo, exec_lo, s11
	s_waitcnt vmcnt(0)
	v_add_co_u32 v5, vcc_lo, s2, v5
	v_add_co_ci_u32_e32 v6, vcc_lo, s3, v6, vcc_lo
	s_waitcnt lgkmcnt(0)
	v_readfirstlane_b32 s11, v9
	flat_load_b32 v10, v[5:6]
	v_add_nc_u32_e32 v5, s11, v8
	s_delay_alu instid0(VALU_DEP_1) | instskip(NEXT) | instid1(VALU_DEP_1)
	v_ashrrev_i32_e32 v6, 31, v5
	v_lshlrev_b64 v[5:6], 2, v[5:6]
	s_delay_alu instid0(VALU_DEP_1) | instskip(NEXT) | instid1(VALU_DEP_2)
	v_add_co_u32 v8, vcc_lo, s27, v5
	v_add_co_ci_u32_e32 v9, vcc_lo, s28, v6, vcc_lo
	v_add_co_u32 v5, vcc_lo, s29, v5
	v_add_co_ci_u32_e32 v6, vcc_lo, s30, v6, vcc_lo
	global_store_b32 v[8:9], v7, off
	s_waitcnt vmcnt(0) lgkmcnt(0)
	global_store_b32 v[5:6], v10, off
.LBB2_181:                              ;   in Loop: Header=BB2_182 Depth=1
	s_or_b32 exec_lo, exec_lo, s1
	v_add_nc_u32_e32 v4, s31, v4
	s_delay_alu instid0(VALU_DEP_1) | instskip(SKIP_1) | instid1(SALU_CYCLE_1)
	v_cmp_le_i32_e32 vcc_lo, s5, v4
	s_or_b32 s10, vcc_lo, s10
	s_and_not1_b32 exec_lo, exec_lo, s10
	s_cbranch_execz .LBB2_196
.LBB2_182:                              ; =>This Inner Loop Header: Depth=1
	s_waitcnt vmcnt(0) lgkmcnt(1)
	v_ashrrev_i32_e32 v5, 31, v4
	s_mov_b32 s11, -1
	s_delay_alu instid0(VALU_DEP_1) | instskip(NEXT) | instid1(VALU_DEP_1)
	v_lshlrev_b64 v[5:6], 2, v[4:5]
	v_add_co_u32 v7, vcc_lo, s4, v5
	s_delay_alu instid0(VALU_DEP_2)
	v_add_co_ci_u32_e32 v8, vcc_lo, s7, v6, vcc_lo
	s_and_b32 vcc_lo, exec_lo, s8
	flat_load_b32 v7, v[7:8]
                                        ; implicit-def: $vgpr8
	s_waitcnt vmcnt(0) lgkmcnt(0)
	v_cmp_gt_f32_e64 s1, 0, v7
	s_cbranch_vccnz .LBB2_186
; %bb.183:                              ;   in Loop: Header=BB2_182 Depth=1
	s_and_not1_b32 vcc_lo, exec_lo, s11
	s_cbranch_vccz .LBB2_187
.LBB2_184:                              ;   in Loop: Header=BB2_182 Depth=1
	s_mov_b32 s1, exec_lo
	s_delay_alu instid0(VALU_DEP_1)
	v_cmpx_ge_u32_e64 v8, v3
	s_xor_b32 s1, exec_lo, s1
	s_cbranch_execnz .LBB2_188
.LBB2_185:                              ;   in Loop: Header=BB2_182 Depth=1
	s_and_not1_saveexec_b32 s1, s1
	s_cbranch_execz .LBB2_181
	s_branch .LBB2_194
.LBB2_186:                              ;   in Loop: Header=BB2_182 Depth=1
	s_delay_alu instid0(VALU_DEP_1) | instskip(NEXT) | instid1(VALU_DEP_1)
	v_cndmask_b32_e64 v8, 0x7fffffff, 0, s1
	v_xor_b32_e32 v8, v8, v7
	s_delay_alu instid0(VALU_DEP_1)
	v_and_b32_e32 v8, s9, v8
	s_cbranch_execnz .LBB2_184
.LBB2_187:                              ;   in Loop: Header=BB2_182 Depth=1
	s_delay_alu instid0(VALU_DEP_1) | instskip(SKIP_1) | instid1(VALU_DEP_1)
	v_cndmask_b32_e64 v8, 0x7ff, 0, s1
	v_and_b32_e32 v9, 0x7ff, v7
	v_xor_b32_e32 v8, v8, v9
	s_mov_b32 s1, exec_lo
	s_delay_alu instid0(VALU_DEP_1)
	v_cmpx_ge_u32_e64 v8, v3
	s_xor_b32 s1, exec_lo, s1
	s_cbranch_execz .LBB2_185
.LBB2_188:                              ;   in Loop: Header=BB2_182 Depth=1
	s_mov_b32 s11, exec_lo
	v_cmpx_eq_u32_e64 v8, v3
	s_cbranch_execz .LBB2_193
; %bb.189:                              ;   in Loop: Header=BB2_182 Depth=1
	v_add_co_u32 v5, vcc_lo, s2, v5
	v_add_co_ci_u32_e32 v6, vcc_lo, s3, v6, vcc_lo
	s_mov_b32 s12, exec_lo
	s_mov_b32 s13, exec_lo
                                        ; implicit-def: $vgpr8
	flat_load_b32 v5, v[5:6]
	v_mbcnt_lo_u32_b32 v6, s12, 0
	s_delay_alu instid0(VALU_DEP_1)
	v_cmpx_eq_u32_e32 0, v6
	s_cbranch_execz .LBB2_191
; %bb.190:                              ;   in Loop: Header=BB2_182 Depth=1
	s_bcnt1_i32_b32 s12, s12
	s_delay_alu instid0(SALU_CYCLE_1)
	v_mov_b32_e32 v8, s12
	ds_add_rtn_u32 v8, v1, v8 offset:512
.LBB2_191:                              ;   in Loop: Header=BB2_182 Depth=1
	s_or_b32 exec_lo, exec_lo, s13
	s_waitcnt lgkmcnt(0)
	v_readfirstlane_b32 s12, v8
	s_delay_alu instid0(VALU_DEP_1) | instskip(NEXT) | instid1(VALU_DEP_1)
	v_add_nc_u32_e32 v6, s12, v6
	v_cmp_lt_i32_e32 vcc_lo, v6, v2
	s_and_b32 exec_lo, exec_lo, vcc_lo
	s_cbranch_execz .LBB2_193
; %bb.192:                              ;   in Loop: Header=BB2_182 Depth=1
	v_xad_u32 v8, v6, -1, s26
	s_delay_alu instid0(VALU_DEP_1) | instskip(NEXT) | instid1(VALU_DEP_1)
	v_ashrrev_i32_e32 v9, 31, v8
	v_lshlrev_b64 v[8:9], 2, v[8:9]
	s_delay_alu instid0(VALU_DEP_1) | instskip(NEXT) | instid1(VALU_DEP_2)
	v_add_co_u32 v10, vcc_lo, s27, v8
	v_add_co_ci_u32_e32 v11, vcc_lo, s28, v9, vcc_lo
	v_add_co_u32 v8, vcc_lo, s29, v8
	v_add_co_ci_u32_e32 v9, vcc_lo, s30, v9, vcc_lo
	global_store_b32 v[10:11], v7, off
	s_waitcnt vmcnt(0)
	global_store_b32 v[8:9], v5, off
.LBB2_193:                              ;   in Loop: Header=BB2_182 Depth=1
	s_or_b32 exec_lo, exec_lo, s11
                                        ; implicit-def: $vgpr7
                                        ; implicit-def: $vgpr5_vgpr6
	s_and_not1_saveexec_b32 s1, s1
	s_cbranch_execz .LBB2_181
.LBB2_194:                              ;   in Loop: Header=BB2_182 Depth=1
	s_mov_b32 s12, exec_lo
	s_mov_b32 s11, exec_lo
	v_mbcnt_lo_u32_b32 v8, s12, 0
                                        ; implicit-def: $vgpr9
	s_delay_alu instid0(VALU_DEP_1)
	v_cmpx_eq_u32_e32 0, v8
	s_cbranch_execz .LBB2_180
; %bb.195:                              ;   in Loop: Header=BB2_182 Depth=1
	s_bcnt1_i32_b32 s12, s12
	s_delay_alu instid0(SALU_CYCLE_1)
	v_mov_b32_e32 v9, s12
	ds_add_rtn_u32 v9, v1, v9 offset:384
	s_branch .LBB2_180
.LBB2_196:
	s_or_b32 exec_lo, exec_lo, s6
	s_cbranch_execz .LBB2_198
	s_branch .LBB2_219
.LBB2_197:
.LBB2_198:
	s_and_saveexec_b32 s1, s0
	s_cbranch_execz .LBB2_219
; %bb.199:
	v_mov_b32_e32 v6, 0
	s_lshl_b32 s1, -1, s18
	s_mov_b32 s2, 0
	s_branch .LBB2_201
.LBB2_200:                              ;   in Loop: Header=BB2_201 Depth=1
	s_or_b32 exec_lo, exec_lo, s0
	v_add_nc_u32_e32 v0, s31, v0
	s_delay_alu instid0(VALU_DEP_1) | instskip(SKIP_1) | instid1(SALU_CYCLE_1)
	v_cmp_le_i32_e32 vcc_lo, s5, v0
	s_or_b32 s2, vcc_lo, s2
	s_and_not1_b32 exec_lo, exec_lo, s2
	s_cbranch_execz .LBB2_219
.LBB2_201:                              ; =>This Inner Loop Header: Depth=1
	v_ashrrev_i32_e32 v1, 31, v0
	s_mov_b32 s3, -1
	s_waitcnt vmcnt(0) lgkmcnt(1)
	s_delay_alu instid0(VALU_DEP_1) | instskip(NEXT) | instid1(VALU_DEP_1)
	v_lshlrev_b64 v[4:5], 2, v[0:1]
	v_add_co_u32 v4, vcc_lo, s4, v4
	s_delay_alu instid0(VALU_DEP_2)
	v_add_co_ci_u32_e32 v5, vcc_lo, s7, v5, vcc_lo
	s_and_b32 vcc_lo, exec_lo, s8
	flat_load_b32 v1, v[4:5]
                                        ; implicit-def: $vgpr5
	s_waitcnt vmcnt(0) lgkmcnt(0)
	v_cmp_gt_f32_e64 s0, 0, v1
	s_cbranch_vccz .LBB2_203
; %bb.202:                              ;   in Loop: Header=BB2_201 Depth=1
	s_delay_alu instid0(VALU_DEP_1) | instskip(SKIP_1) | instid1(VALU_DEP_1)
	v_cndmask_b32_e64 v4, 0x7fffffff, 0, s0
	s_mov_b32 s3, 0
	v_xor_b32_e32 v4, v4, v1
	s_delay_alu instid0(VALU_DEP_1)
	v_and_b32_e32 v5, s1, v4
.LBB2_203:                              ;   in Loop: Header=BB2_201 Depth=1
	s_and_not1_b32 vcc_lo, exec_lo, s3
	s_cbranch_vccnz .LBB2_205
; %bb.204:                              ;   in Loop: Header=BB2_201 Depth=1
	s_delay_alu instid0(VALU_DEP_1) | instskip(SKIP_1) | instid1(VALU_DEP_1)
	v_cndmask_b32_e64 v4, 0x7ff, 0, s0
	v_and_b32_e32 v5, 0x7ff, v1
	v_xor_b32_e32 v5, v4, v5
.LBB2_205:                              ;   in Loop: Header=BB2_201 Depth=1
	s_mov_b32 s3, 0
	s_mov_b32 s0, exec_lo
                                        ; implicit-def: $vgpr4
	s_delay_alu instid0(VALU_DEP_1)
	v_cmpx_ge_u32_e64 v5, v3
	s_xor_b32 s0, exec_lo, s0
	s_cbranch_execnz .LBB2_208
; %bb.206:                              ;   in Loop: Header=BB2_201 Depth=1
	s_and_not1_saveexec_b32 s0, s0
	s_cbranch_execnz .LBB2_215
.LBB2_207:                              ;   in Loop: Header=BB2_201 Depth=1
	s_or_b32 exec_lo, exec_lo, s0
	s_and_saveexec_b32 s0, s3
	s_cbranch_execz .LBB2_200
	s_branch .LBB2_218
.LBB2_208:                              ;   in Loop: Header=BB2_201 Depth=1
	s_mov_b32 s6, 0
	s_mov_b32 s3, exec_lo
                                        ; implicit-def: $vgpr4
	v_cmpx_eq_u32_e64 v5, v3
	s_cbranch_execz .LBB2_214
; %bb.209:                              ;   in Loop: Header=BB2_201 Depth=1
	s_mov_b32 s9, exec_lo
	s_mov_b32 s6, exec_lo
	v_mbcnt_lo_u32_b32 v4, s9, 0
                                        ; implicit-def: $vgpr5
	s_delay_alu instid0(VALU_DEP_1)
	v_cmpx_eq_u32_e32 0, v4
	s_cbranch_execz .LBB2_211
; %bb.210:                              ;   in Loop: Header=BB2_201 Depth=1
	s_bcnt1_i32_b32 s9, s9
	s_delay_alu instid0(SALU_CYCLE_1)
	v_mov_b32_e32 v5, s9
	ds_add_rtn_u32 v5, v6, v5 offset:512
.LBB2_211:                              ;   in Loop: Header=BB2_201 Depth=1
	s_or_b32 exec_lo, exec_lo, s6
	s_waitcnt lgkmcnt(0)
	v_readfirstlane_b32 s6, v5
	s_mov_b32 s9, exec_lo
	s_delay_alu instid0(VALU_DEP_1) | instskip(SKIP_1) | instid1(VALU_DEP_1)
	v_add_nc_u32_e32 v5, s6, v4
	s_mov_b32 s6, 0
                                        ; implicit-def: $vgpr4
	v_cmpx_lt_i32_e64 v5, v2
	s_xor_b32 s9, exec_lo, s9
; %bb.212:                              ;   in Loop: Header=BB2_201 Depth=1
	v_xad_u32 v4, v5, -1, s26
	s_mov_b32 s6, exec_lo
; %bb.213:                              ;   in Loop: Header=BB2_201 Depth=1
	s_or_b32 exec_lo, exec_lo, s9
	s_delay_alu instid0(SALU_CYCLE_1)
	s_and_b32 s6, s6, exec_lo
.LBB2_214:                              ;   in Loop: Header=BB2_201 Depth=1
	s_or_b32 exec_lo, exec_lo, s3
	s_delay_alu instid0(SALU_CYCLE_1)
	s_and_b32 s3, s6, exec_lo
	s_and_not1_saveexec_b32 s0, s0
	s_cbranch_execz .LBB2_207
.LBB2_215:                              ;   in Loop: Header=BB2_201 Depth=1
	s_mov_b32 s9, exec_lo
	s_mov_b32 s6, exec_lo
	v_mbcnt_lo_u32_b32 v4, s9, 0
                                        ; implicit-def: $vgpr5
	s_delay_alu instid0(VALU_DEP_1)
	v_cmpx_eq_u32_e32 0, v4
	s_cbranch_execz .LBB2_217
; %bb.216:                              ;   in Loop: Header=BB2_201 Depth=1
	s_bcnt1_i32_b32 s9, s9
	s_delay_alu instid0(SALU_CYCLE_1)
	v_mov_b32_e32 v5, s9
	ds_add_rtn_u32 v5, v6, v5 offset:384
.LBB2_217:                              ;   in Loop: Header=BB2_201 Depth=1
	s_or_b32 exec_lo, exec_lo, s6
	s_waitcnt lgkmcnt(0)
	v_readfirstlane_b32 s6, v5
	s_or_b32 s3, s3, exec_lo
	s_delay_alu instid0(VALU_DEP_1)
	v_add_nc_u32_e32 v4, s6, v4
	s_or_b32 exec_lo, exec_lo, s0
	s_and_saveexec_b32 s0, s3
	s_cbranch_execz .LBB2_200
.LBB2_218:                              ;   in Loop: Header=BB2_201 Depth=1
	s_delay_alu instid0(VALU_DEP_1) | instskip(NEXT) | instid1(VALU_DEP_1)
	v_ashrrev_i32_e32 v5, 31, v4
	v_lshlrev_b64 v[4:5], 2, v[4:5]
	s_delay_alu instid0(VALU_DEP_1) | instskip(NEXT) | instid1(VALU_DEP_2)
	v_add_co_u32 v7, vcc_lo, s27, v4
	v_add_co_ci_u32_e32 v8, vcc_lo, s28, v5, vcc_lo
	v_add_co_u32 v4, vcc_lo, s29, v4
	v_add_co_ci_u32_e32 v5, vcc_lo, s30, v5, vcc_lo
	global_store_b32 v[7:8], v1, off
	global_store_b32 v[4:5], v0, off
	s_branch .LBB2_200
.LBB2_219:
	s_nop 0
	s_sendmsg sendmsg(MSG_DEALLOC_VGPRS)
	s_endpgm
	.section	.rodata,"a",@progbits
	.p2align	6, 0x0
	.amdhsa_kernel _Z27radix_topk_one_block_kernelIfiLi11ELi1024ELb1ELb0EL5Phase0EEvPKT_PKT0_lS6_S6_S4_PS1_PS4_bPci
		.amdhsa_group_segment_fixed_size 25604
		.amdhsa_private_segment_fixed_size 0
		.amdhsa_kernarg_size 344
		.amdhsa_user_sgpr_count 15
		.amdhsa_user_sgpr_dispatch_ptr 0
		.amdhsa_user_sgpr_queue_ptr 0
		.amdhsa_user_sgpr_kernarg_segment_ptr 1
		.amdhsa_user_sgpr_dispatch_id 0
		.amdhsa_user_sgpr_private_segment_size 0
		.amdhsa_wavefront_size32 1
		.amdhsa_uses_dynamic_stack 0
		.amdhsa_enable_private_segment 0
		.amdhsa_system_sgpr_workgroup_id_x 1
		.amdhsa_system_sgpr_workgroup_id_y 0
		.amdhsa_system_sgpr_workgroup_id_z 0
		.amdhsa_system_sgpr_workgroup_info 0
		.amdhsa_system_vgpr_workitem_id 0
		.amdhsa_next_free_vgpr 52
		.amdhsa_next_free_sgpr 49
		.amdhsa_reserve_vcc 1
		.amdhsa_float_round_mode_32 0
		.amdhsa_float_round_mode_16_64 0
		.amdhsa_float_denorm_mode_32 3
		.amdhsa_float_denorm_mode_16_64 3
		.amdhsa_dx10_clamp 1
		.amdhsa_ieee_mode 1
		.amdhsa_fp16_overflow 0
		.amdhsa_workgroup_processor_mode 1
		.amdhsa_memory_ordered 1
		.amdhsa_forward_progress 0
		.amdhsa_shared_vgpr_count 0
		.amdhsa_exception_fp_ieee_invalid_op 0
		.amdhsa_exception_fp_denorm_src 0
		.amdhsa_exception_fp_ieee_div_zero 0
		.amdhsa_exception_fp_ieee_overflow 0
		.amdhsa_exception_fp_ieee_underflow 0
		.amdhsa_exception_fp_ieee_inexact 0
		.amdhsa_exception_int_div_zero 0
	.end_amdhsa_kernel
	.section	.text._Z27radix_topk_one_block_kernelIfiLi11ELi1024ELb1ELb0EL5Phase0EEvPKT_PKT0_lS6_S6_S4_PS1_PS4_bPci,"axG",@progbits,_Z27radix_topk_one_block_kernelIfiLi11ELi1024ELb1ELb0EL5Phase0EEvPKT_PKT0_lS6_S6_S4_PS1_PS4_bPci,comdat
.Lfunc_end2:
	.size	_Z27radix_topk_one_block_kernelIfiLi11ELi1024ELb1ELb0EL5Phase0EEvPKT_PKT0_lS6_S6_S4_PS1_PS4_bPci, .Lfunc_end2-_Z27radix_topk_one_block_kernelIfiLi11ELi1024ELb1ELb0EL5Phase0EEvPKT_PKT0_lS6_S6_S4_PS1_PS4_bPci
                                        ; -- End function
	.section	.AMDGPU.csdata,"",@progbits
; Kernel info:
; codeLenInByte = 8608
; NumSgprs: 51
; NumVgprs: 52
; ScratchSize: 0
; MemoryBound: 0
; FloatMode: 240
; IeeeMode: 1
; LDSByteSize: 25604 bytes/workgroup (compile time only)
; SGPRBlocks: 6
; VGPRBlocks: 6
; NumSGPRsForWavesPerEU: 51
; NumVGPRsForWavesPerEU: 52
; Occupancy: 16
; WaveLimiterHint : 0
; COMPUTE_PGM_RSRC2:SCRATCH_EN: 0
; COMPUTE_PGM_RSRC2:USER_SGPR: 15
; COMPUTE_PGM_RSRC2:TRAP_HANDLER: 0
; COMPUTE_PGM_RSRC2:TGID_X_EN: 1
; COMPUTE_PGM_RSRC2:TGID_Y_EN: 0
; COMPUTE_PGM_RSRC2:TGID_Z_EN: 0
; COMPUTE_PGM_RSRC2:TIDIG_COMP_CNT: 0
	.section	.text._Z27radix_topk_one_block_kernelIfiLi11ELi1024ELb0ELb0EL5Phase0EEvPKT_PKT0_lS6_S6_S4_PS1_PS4_bPci,"axG",@progbits,_Z27radix_topk_one_block_kernelIfiLi11ELi1024ELb0ELb0EL5Phase0EEvPKT_PKT0_lS6_S6_S4_PS1_PS4_bPci,comdat
	.protected	_Z27radix_topk_one_block_kernelIfiLi11ELi1024ELb0ELb0EL5Phase0EEvPKT_PKT0_lS6_S6_S4_PS1_PS4_bPci ; -- Begin function _Z27radix_topk_one_block_kernelIfiLi11ELi1024ELb0ELb0EL5Phase0EEvPKT_PKT0_lS6_S6_S4_PS1_PS4_bPci
	.globl	_Z27radix_topk_one_block_kernelIfiLi11ELi1024ELb0ELb0EL5Phase0EEvPKT_PKT0_lS6_S6_S4_PS1_PS4_bPci
	.p2align	8
	.type	_Z27radix_topk_one_block_kernelIfiLi11ELi1024ELb0ELb0EL5Phase0EEvPKT_PKT0_lS6_S6_S4_PS1_PS4_bPci,@function
_Z27radix_topk_one_block_kernelIfiLi11ELi1024ELb0ELb0EL5Phase0EEvPKT_PKT0_lS6_S6_S4_PS1_PS4_bPci: ; @_Z27radix_topk_one_block_kernelIfiLi11ELi1024ELb0ELb0EL5Phase0EEvPKT_PKT0_lS6_S6_S4_PS1_PS4_bPci
; %bb.0:
	s_mov_b32 s16, s15
	s_clause 0x1
	s_load_b256 s[8:15], s[0:1], 0x0
	s_load_b64 s[2:3], s[0:1], 0x20
	s_mov_b32 s17, 0
	s_waitcnt lgkmcnt(0)
	s_cmp_eq_u64 s[14:15], 0
	s_cselect_b32 s4, -1, 0
	s_cmp_eq_u64 s[2:3], 0
	s_cselect_b32 s5, -1, 0
	s_delay_alu instid0(SALU_CYCLE_1) | instskip(NEXT) | instid1(SALU_CYCLE_1)
	s_or_b32 s4, s4, s5
	s_and_b32 vcc_lo, exec_lo, s4
	s_mov_b32 s4, s12
	s_cbranch_vccnz .LBB3_2
; %bb.1:
	s_lshl_b64 s[4:5], s[16:17], 2
	s_delay_alu instid0(SALU_CYCLE_1)
	s_add_u32 s2, s2, s4
	s_addc_u32 s3, s3, s5
	s_add_u32 s4, s14, s4
	s_addc_u32 s5, s15, s5
	s_load_b32 s17, s[4:5], 0x0
	s_load_b32 s4, s[2:3], 0x0
.LBB3_2:
	s_load_b32 s26, s[0:1], 0x28
	v_cmp_ne_u32_e64 s2, 0, v0
	v_cmp_eq_u32_e64 s3, 0, v0
	s_waitcnt lgkmcnt(0)
	s_sub_i32 s30, s4, s17
	s_delay_alu instid0(VALU_DEP_1)
	s_and_saveexec_b32 s4, s3
	s_cbranch_execz .LBB3_4
; %bb.3:
	v_dual_mov_b32 v2, s30 :: v_dual_mov_b32 v1, s26
	v_dual_mov_b32 v4, 0 :: v_dual_mov_b32 v3, s30
	ds_store_b128 v4, v[1:4]
	ds_store_2addr_b32 v4, v4, v4 offset0:96 offset1:128
.LBB3_4:
	s_or_b32 exec_lo, exec_lo, s4
	s_load_b64 s[6:7], s[0:1], 0x38
	s_ashr_i32 s4, s26, 31
	s_mul_hi_u32 s5, s26, s16
	s_mul_i32 s4, s4, s16
	s_mul_i32 s14, s26, s16
	s_add_i32 s15, s5, s4
	s_cmp_gt_i32 s30, s26
	s_mov_b32 s4, -1
	s_waitcnt lgkmcnt(0)
	s_barrier
	buffer_gl0_inv
	s_cbranch_scc1 .LBB3_9
; %bb.5:
	s_mov_b32 s5, exec_lo
	v_cmpx_gt_i32_e64 s26, v0
	s_cbranch_execz .LBB3_8
; %bb.6:
	v_lshlrev_b32_e32 v1, 2, v0
	s_lshl_b64 s[18:19], s[14:15], 2
	v_mov_b32_e32 v3, v0
	s_add_u32 s4, s6, s18
	s_addc_u32 s18, s7, s19
	v_add_co_u32 v1, s4, s4, v1
	s_delay_alu instid0(VALU_DEP_1)
	v_add_co_ci_u32_e64 v2, null, s18, 0, s4
	s_mov_b32 s18, 0
.LBB3_7:                                ; =>This Inner Loop Header: Depth=1
	v_add_nc_u32_e32 v4, s17, v3
	v_cmp_gt_i32_e32 vcc_lo, s30, v3
	s_delay_alu instid0(VALU_DEP_2) | instskip(NEXT) | instid1(VALU_DEP_1)
	v_dual_cndmask_b32 v4, -1, v4 :: v_dual_add_nc_u32 v3, 0x400, v3
	v_cmp_le_i32_e32 vcc_lo, s26, v3
	global_store_b32 v[1:2], v4, off
	v_add_co_u32 v1, s4, 0x1000, v1
	s_delay_alu instid0(VALU_DEP_1) | instskip(SKIP_1) | instid1(SALU_CYCLE_1)
	v_add_co_ci_u32_e64 v2, s4, 0, v2, s4
	s_or_b32 s18, vcc_lo, s18
	s_and_not1_b32 exec_lo, exec_lo, s18
	s_cbranch_execnz .LBB3_7
.LBB3_8:
	s_or_b32 exec_lo, exec_lo, s5
	s_mov_b32 s4, 0
.LBB3_9:
	s_delay_alu instid0(SALU_CYCLE_1)
	s_and_not1_b32 vcc_lo, exec_lo, s4
	s_cbranch_vccnz .LBB3_223
; %bb.10:
	s_mul_i32 s5, s16, s13
	s_mul_hi_u32 s13, s16, s12
	s_mul_i32 s4, s16, s12
	s_add_i32 s5, s13, s5
	v_or_b32_e32 v1, 0x400, v0
	s_lshl_b64 s[18:19], s[4:5], 2
	v_lshrrev_b32_e32 v3, 4, v0
	s_add_u32 s4, s8, s18
	s_addc_u32 s5, s9, s19
	s_lshl_b64 s[8:9], s[14:15], 2
	s_load_b64 s[14:15], s[0:1], 0x48
	v_lshrrev_b32_e32 v1, 3, v1
	s_add_u32 s27, s6, s8
	s_load_b32 s8, s[0:1], 0x64
	v_lshlrev_b32_e32 v4, 2, v0
	s_addc_u32 s28, s7, s9
	v_dual_mov_b32 v10, 0 :: v_dual_and_b32 v1, 0xfc, v1
	s_add_u32 s6, s10, s18
	s_addc_u32 s7, s11, s19
	s_cmp_lg_u64 s[10:11], 0
	v_lshl_add_u32 v3, v0, 1, v3
	v_add3_u32 v8, v1, v4, 0x4280
	v_dual_mov_b32 v16, 1 :: v_dual_add_nc_u32 v1, -1, v0
	s_cselect_b32 s7, s7, 0
	s_cselect_b32 s6, s6, 0
	s_lshr_b32 s0, s12, 5
	v_lshrrev_b32_e32 v2, 3, v0
	s_and_b32 s35, s0, 0x7ffffc0
	v_lshl_add_u32 v9, v3, 2, 0x4280
	s_mul_hi_u32 s1, s16, s35
	s_mul_i32 s0, s16, s35
	v_lshrrev_b32_e32 v3, 5, v1
	s_lshl_b64 s[0:1], s[0:1], 4
	v_and_b32_e32 v2, 0x7c, v2
	s_waitcnt lgkmcnt(0)
	s_add_u32 s10, s14, s0
	s_addc_u32 s11, s15, s1
	s_lshl_b32 s0, s35, 3
	v_mul_u32_u24_e32 v5, 33, v0
	v_dual_mov_b32 v18, 0x7c :: v_dual_add_nc_u32 v1, v3, v1
	s_and_b32 s29, s8, 0xffff
	s_add_u32 s12, s10, s0
	s_addc_u32 s13, s11, 0
	s_lshl_b32 s1, s35, 2
	v_add3_u32 v7, v4, v2, 0x4280
	v_cmp_gt_u32_e64 s0, 32, v0
	s_sub_u32 s14, s12, s1
	v_or_b32_e32 v11, 0x6380, v2
	v_lshl_add_u32 v12, v5, 2, 0x4280
	v_lshl_add_u32 v13, v1, 2, 0x4280
	v_add_nc_u32_e32 v14, 0x280, v4
	v_add_nc_u32_e32 v15, 0x27c, v4
	v_lshlrev_b32_e32 v17, 2, v0
	v_mbcnt_lo_u32_b32 v19, -1, 0
	s_subb_u32 s15, s13, 0
	s_add_u32 s16, s12, s1
	s_mov_b32 s36, 0
	s_addc_u32 s17, s13, 0
	s_lshl_b32 s37, s29, 2
	s_mov_b64 s[18:19], src_shared_base
	s_branch .LBB3_12
.LBB3_11:                               ;   in Loop: Header=BB3_12 Depth=1
	s_delay_alu instid0(VALU_DEP_1)
	s_and_not1_b32 vcc_lo, exec_lo, s20
	s_cbranch_vccz .LBB3_137
.LBB3_12:                               ; =>This Loop Header: Depth=1
                                        ;     Child Loop BB3_18 Depth 2
                                        ;     Child Loop BB3_28 Depth 2
	;; [unrolled: 1-line block ×6, first 2 shown]
	s_mov_b64 s[22:23], 0
	s_cmp_lt_i32 s36, 1
	s_mov_b64 s[20:21], s[4:5]
	s_mov_b64 s[8:9], 0
	;; [unrolled: 1-line block ×3, first 2 shown]
	s_cbranch_scc1 .LBB3_17
; %bb.13:                               ;   in Loop: Header=BB3_12 Depth=1
	s_cmp_lg_u32 s36, 1
	s_mov_b32 s1, -1
                                        ; implicit-def: $sgpr24_sgpr25
                                        ; implicit-def: $sgpr8_sgpr9
                                        ; implicit-def: $sgpr22_sgpr23
	s_cbranch_scc0 .LBB3_15
; %bb.14:                               ;   in Loop: Header=BB3_12 Depth=1
	s_mov_b32 s1, 0
	s_mov_b64 s[24:25], s[16:17]
	s_mov_b64 s[8:9], s[14:15]
	;; [unrolled: 1-line block ×3, first 2 shown]
.LBB3_15:                               ;   in Loop: Header=BB3_12 Depth=1
	s_and_not1_b32 vcc_lo, exec_lo, s1
	s_mov_b64 s[20:21], s[10:11]
	s_cbranch_vccnz .LBB3_17
; %bb.16:                               ;   in Loop: Header=BB3_12 Depth=1
	s_mov_b64 s[24:25], s[12:13]
	s_mov_b64 s[8:9], s[10:11]
	;; [unrolled: 1-line block ×4, first 2 shown]
.LBB3_17:                               ;   in Loop: Header=BB3_12 Depth=1
	ds_load_b96 v[2:4], v10
	v_mov_b32_e32 v1, v14
	s_mov_b32 s18, 0
	s_waitcnt lgkmcnt(0)
	v_readfirstlane_b32 s38, v2
	v_mov_b32_e32 v2, v0
	v_readfirstlane_b32 s31, v3
	v_readfirstlane_b32 s1, v4
.LBB3_18:                               ;   Parent Loop BB3_12 Depth=1
                                        ; =>  This Inner Loop Header: Depth=2
	s_delay_alu instid0(VALU_DEP_3) | instskip(SKIP_4) | instid1(SALU_CYCLE_1)
	v_add_nc_u32_e32 v2, s29, v2
	ds_store_b32 v1, v10
	v_add_nc_u32_e32 v1, s37, v1
	v_cmp_lt_u32_e32 vcc_lo, 0xfff, v2
	s_or_b32 s18, vcc_lo, s18
	s_and_not1_b32 exec_lo, exec_lo, s18
	s_cbranch_execnz .LBB3_18
; %bb.19:                               ;   in Loop: Header=BB3_12 Depth=1
	s_or_b32 exec_lo, exec_lo, s18
	s_and_saveexec_b32 s18, s3
	s_cbranch_execz .LBB3_21
; %bb.20:                               ;   in Loop: Header=BB3_12 Depth=1
	ds_store_b32 v10, v10 offset:128
.LBB3_21:                               ;   in Loop: Header=BB3_12 Depth=1
	s_or_b32 exec_lo, exec_lo, s18
	s_cmp_gt_i32 s1, s35
	s_waitcnt lgkmcnt(0)
	s_waitcnt_vscnt null, 0x0
	s_cselect_b32 s41, -1, 0
	s_barrier
	s_and_b32 s18, s41, exec_lo
	s_cselect_b32 s20, s4, s20
	s_cselect_b32 s21, s5, s21
	;; [unrolled: 1-line block ×3, first 2 shown]
	s_cmp_gt_i32 s31, s35
	buffer_gl0_inv
	s_cselect_b32 s33, 0, s24
	s_mul_i32 s24, s36, -11
	s_cselect_b32 s34, 0, s25
	s_cselect_b32 s9, 0, s9
	;; [unrolled: 1-line block ×3, first 2 shown]
	s_max_i32 s18, s24, 0xffffffeb
	s_add_i32 s24, s24, 32
	s_add_i32 s18, s18, 21
	s_delay_alu instid0(SALU_CYCLE_1) | instskip(NEXT) | instid1(SALU_CYCLE_1)
	s_sub_i32 s1, s24, s18
	s_lshl_b32 s1, -1, s1
	s_delay_alu instid0(SALU_CYCLE_1)
	s_not_b32 s39, s1
	s_cmp_lg_u32 s36, 0
	s_cbranch_scc0 .LBB3_37
; %bb.22:                               ;   in Loop: Header=BB3_12 Depth=1
	ds_load_b32 v4, v10 offset:12
	v_cmp_gt_i32_e64 s1, s40, v0
	s_cmp_lg_u64 s[8:9], 0
	s_cbranch_scc0 .LBB3_39
; %bb.23:                               ;   in Loop: Header=BB3_12 Depth=1
	s_and_b32 s25, s41, exec_lo
	s_cselect_b32 s23, s7, s23
	s_cselect_b32 s22, s6, s22
	s_delay_alu instid0(SALU_CYCLE_1)
	s_cmp_eq_u64 s[22:23], 0
	s_cbranch_scc1 .LBB3_40
; %bb.24:                               ;   in Loop: Header=BB3_12 Depth=1
	s_and_saveexec_b32 s25, s1
	s_cbranch_execz .LBB3_38
; %bb.25:                               ;   in Loop: Header=BB3_12 Depth=1
	v_mov_b32_e32 v1, v0
	s_lshl_b32 s41, -1, s24
	s_mov_b32 s42, 0
	s_branch .LBB3_28
.LBB3_26:                               ;   in Loop: Header=BB3_28 Depth=2
	s_or_b32 exec_lo, exec_lo, s44
	v_add_co_u32 v2, vcc_lo, s22, v2
	v_add_co_ci_u32_e32 v3, vcc_lo, s23, v3, vcc_lo
	s_waitcnt lgkmcnt(0)
	v_readfirstlane_b32 s44, v21
	v_lshrrev_b32_e32 v6, s18, v6
	flat_load_b32 v22, v[2:3]
	v_add_nc_u32_e32 v2, s44, v20
	v_and_b32_e32 v6, s39, v6
	s_delay_alu instid0(VALU_DEP_2) | instskip(NEXT) | instid1(VALU_DEP_2)
	v_ashrrev_i32_e32 v3, 31, v2
	v_lshlrev_b32_e32 v6, 2, v6
	s_delay_alu instid0(VALU_DEP_2) | instskip(NEXT) | instid1(VALU_DEP_1)
	v_lshlrev_b64 v[2:3], 2, v[2:3]
	v_add_co_u32 v20, vcc_lo, s8, v2
	s_delay_alu instid0(VALU_DEP_2)
	v_add_co_ci_u32_e32 v21, vcc_lo, s9, v3, vcc_lo
	v_add_co_u32 v2, vcc_lo, s33, v2
	v_add_co_ci_u32_e32 v3, vcc_lo, s34, v3, vcc_lo
	flat_store_b32 v[20:21], v5
	s_waitcnt vmcnt(0) lgkmcnt(1)
	flat_store_b32 v[2:3], v22
	ds_add_u32 v6, v16 offset:640
.LBB3_27:                               ;   in Loop: Header=BB3_28 Depth=2
	s_or_b32 exec_lo, exec_lo, s43
	v_add_nc_u32_e32 v1, s29, v1
	s_delay_alu instid0(VALU_DEP_1) | instskip(SKIP_1) | instid1(SALU_CYCLE_1)
	v_cmp_le_i32_e32 vcc_lo, s40, v1
	s_or_b32 s42, vcc_lo, s42
	s_and_not1_b32 exec_lo, exec_lo, s42
	s_cbranch_execz .LBB3_38
.LBB3_28:                               ;   Parent Loop BB3_12 Depth=1
                                        ; =>  This Inner Loop Header: Depth=2
	s_delay_alu instid0(VALU_DEP_1) | instskip(SKIP_1) | instid1(VALU_DEP_1)
	v_ashrrev_i32_e32 v2, 31, v1
	s_mov_b32 s43, exec_lo
	v_lshlrev_b64 v[2:3], 2, v[1:2]
	s_delay_alu instid0(VALU_DEP_1) | instskip(NEXT) | instid1(VALU_DEP_2)
	v_add_co_u32 v5, vcc_lo, s20, v2
	v_add_co_ci_u32_e32 v6, vcc_lo, s21, v3, vcc_lo
	global_load_b32 v5, v[5:6], off
	s_waitcnt vmcnt(0)
	v_cmp_gt_f32_e32 vcc_lo, 0, v5
	v_cndmask_b32_e64 v6, 0x7fffffff, 0, vcc_lo
	s_delay_alu instid0(VALU_DEP_1) | instskip(NEXT) | instid1(VALU_DEP_1)
	v_xor_b32_e32 v6, v6, v5
	v_and_b32_e32 v20, s41, v6
	s_waitcnt lgkmcnt(0)
	s_delay_alu instid0(VALU_DEP_1)
	v_cmpx_ne_u32_e64 v20, v4
	s_xor_b32 s43, exec_lo, s43
	s_cbranch_execz .LBB3_34
; %bb.29:                               ;   in Loop: Header=BB3_28 Depth=2
	s_mov_b32 s44, exec_lo
	v_cmpx_lt_u32_e64 v20, v4
	s_cbranch_execz .LBB3_33
; %bb.30:                               ;   in Loop: Header=BB3_28 Depth=2
	s_mov_b32 s46, exec_lo
	s_mov_b32 s45, exec_lo
	v_mbcnt_lo_u32_b32 v5, s46, 0
                                        ; implicit-def: $vgpr6
	s_delay_alu instid0(VALU_DEP_1)
	v_cmpx_eq_u32_e32 0, v5
	s_cbranch_execz .LBB3_32
; %bb.31:                               ;   in Loop: Header=BB3_28 Depth=2
	s_bcnt1_i32_b32 s46, s46
	s_delay_alu instid0(SALU_CYCLE_1)
	v_mov_b32_e32 v6, s46
	ds_add_rtn_u32 v6, v10, v6 offset:384
.LBB3_32:                               ;   in Loop: Header=BB3_28 Depth=2
	s_or_b32 exec_lo, exec_lo, s45
	v_add_co_u32 v2, vcc_lo, s22, v2
	v_add_co_ci_u32_e32 v3, vcc_lo, s23, v3, vcc_lo
	s_waitcnt lgkmcnt(0)
	v_readfirstlane_b32 s45, v6
	flat_load_b32 v20, v[2:3]
	v_add_nc_u32_e32 v2, s45, v5
	s_delay_alu instid0(VALU_DEP_1) | instskip(NEXT) | instid1(VALU_DEP_1)
	v_ashrrev_i32_e32 v3, 31, v2
	v_lshlrev_b64 v[2:3], 2, v[2:3]
	s_delay_alu instid0(VALU_DEP_1) | instskip(NEXT) | instid1(VALU_DEP_2)
	v_add_co_u32 v2, vcc_lo, s27, v2
	v_add_co_ci_u32_e32 v3, vcc_lo, s28, v3, vcc_lo
	s_waitcnt vmcnt(0) lgkmcnt(0)
	global_store_b32 v[2:3], v20, off
.LBB3_33:                               ;   in Loop: Header=BB3_28 Depth=2
	s_or_b32 exec_lo, exec_lo, s44
                                        ; implicit-def: $vgpr5
                                        ; implicit-def: $vgpr2_vgpr3
                                        ; implicit-def: $vgpr6
.LBB3_34:                               ;   in Loop: Header=BB3_28 Depth=2
	s_and_not1_saveexec_b32 s43, s43
	s_cbranch_execz .LBB3_27
; %bb.35:                               ;   in Loop: Header=BB3_28 Depth=2
	s_mov_b32 s45, exec_lo
	s_mov_b32 s44, exec_lo
	v_mbcnt_lo_u32_b32 v20, s45, 0
                                        ; implicit-def: $vgpr21
	s_delay_alu instid0(VALU_DEP_1)
	v_cmpx_eq_u32_e32 0, v20
	s_cbranch_execz .LBB3_26
; %bb.36:                               ;   in Loop: Header=BB3_28 Depth=2
	s_bcnt1_i32_b32 s45, s45
	s_delay_alu instid0(SALU_CYCLE_1)
	v_mov_b32_e32 v21, s45
	ds_add_rtn_u32 v21, v10, v21 offset:128
	s_branch .LBB3_26
.LBB3_37:                               ;   in Loop: Header=BB3_12 Depth=1
                                        ; implicit-def: $sgpr22
	s_branch .LBB3_63
.LBB3_38:                               ;   in Loop: Header=BB3_12 Depth=1
	s_or_b32 exec_lo, exec_lo, s25
	s_mov_b32 s22, 0
	s_cbranch_execz .LBB3_41
	s_branch .LBB3_55
.LBB3_39:                               ;   in Loop: Header=BB3_12 Depth=1
                                        ; implicit-def: $sgpr22
	s_branch .LBB3_56
.LBB3_40:                               ;   in Loop: Header=BB3_12 Depth=1
	s_mov_b32 s22, -1
.LBB3_41:                               ;   in Loop: Header=BB3_12 Depth=1
	s_and_saveexec_b32 s22, s1
	s_cbranch_execz .LBB3_54
; %bb.42:                               ;   in Loop: Header=BB3_12 Depth=1
	v_mov_b32_e32 v1, v0
	s_lshl_b32 s1, -1, s24
	s_mov_b32 s23, 0
	s_branch .LBB3_45
.LBB3_43:                               ;   in Loop: Header=BB3_45 Depth=2
	s_or_b32 exec_lo, exec_lo, s41
	s_waitcnt lgkmcnt(0)
	v_readfirstlane_b32 s41, v6
	v_lshrrev_b32_e32 v3, s18, v3
	s_delay_alu instid0(VALU_DEP_2) | instskip(NEXT) | instid1(VALU_DEP_2)
	v_add_nc_u32_e32 v5, s41, v5
	v_and_b32_e32 v3, s39, v3
	s_delay_alu instid0(VALU_DEP_2) | instskip(NEXT) | instid1(VALU_DEP_2)
	v_ashrrev_i32_e32 v6, 31, v5
	v_lshlrev_b32_e32 v3, 2, v3
	s_delay_alu instid0(VALU_DEP_2) | instskip(NEXT) | instid1(VALU_DEP_1)
	v_lshlrev_b64 v[5:6], 2, v[5:6]
	v_add_co_u32 v20, vcc_lo, s8, v5
	s_delay_alu instid0(VALU_DEP_2)
	v_add_co_ci_u32_e32 v21, vcc_lo, s9, v6, vcc_lo
	v_add_co_u32 v5, vcc_lo, s33, v5
	v_add_co_ci_u32_e32 v6, vcc_lo, s34, v6, vcc_lo
	flat_store_b32 v[20:21], v2
	flat_store_b32 v[5:6], v1
	ds_add_u32 v3, v16 offset:640
.LBB3_44:                               ;   in Loop: Header=BB3_45 Depth=2
	s_or_b32 exec_lo, exec_lo, s25
	v_add_nc_u32_e32 v1, s29, v1
	s_delay_alu instid0(VALU_DEP_1) | instskip(SKIP_1) | instid1(SALU_CYCLE_1)
	v_cmp_le_i32_e32 vcc_lo, s40, v1
	s_or_b32 s23, vcc_lo, s23
	s_and_not1_b32 exec_lo, exec_lo, s23
	s_cbranch_execz .LBB3_54
.LBB3_45:                               ;   Parent Loop BB3_12 Depth=1
                                        ; =>  This Inner Loop Header: Depth=2
	s_delay_alu instid0(VALU_DEP_1) | instskip(SKIP_1) | instid1(VALU_DEP_1)
	v_ashrrev_i32_e32 v2, 31, v1
	s_mov_b32 s25, exec_lo
	v_lshlrev_b64 v[2:3], 2, v[1:2]
	s_delay_alu instid0(VALU_DEP_1) | instskip(NEXT) | instid1(VALU_DEP_2)
	v_add_co_u32 v2, vcc_lo, s20, v2
	v_add_co_ci_u32_e32 v3, vcc_lo, s21, v3, vcc_lo
	global_load_b32 v2, v[2:3], off
	s_waitcnt vmcnt(0)
	v_cmp_gt_f32_e32 vcc_lo, 0, v2
	v_cndmask_b32_e64 v3, 0x7fffffff, 0, vcc_lo
	s_delay_alu instid0(VALU_DEP_1) | instskip(NEXT) | instid1(VALU_DEP_1)
	v_xor_b32_e32 v3, v3, v2
	v_and_b32_e32 v5, s1, v3
	s_waitcnt lgkmcnt(0)
	s_delay_alu instid0(VALU_DEP_1)
	v_cmpx_ne_u32_e64 v5, v4
	s_xor_b32 s25, exec_lo, s25
	s_cbranch_execz .LBB3_51
; %bb.46:                               ;   in Loop: Header=BB3_45 Depth=2
	s_mov_b32 s41, exec_lo
	v_cmpx_lt_u32_e64 v5, v4
	s_cbranch_execz .LBB3_50
; %bb.47:                               ;   in Loop: Header=BB3_45 Depth=2
	s_mov_b32 s43, exec_lo
	s_mov_b32 s42, exec_lo
	v_mbcnt_lo_u32_b32 v2, s43, 0
                                        ; implicit-def: $vgpr3
	s_delay_alu instid0(VALU_DEP_1)
	v_cmpx_eq_u32_e32 0, v2
	s_cbranch_execz .LBB3_49
; %bb.48:                               ;   in Loop: Header=BB3_45 Depth=2
	s_bcnt1_i32_b32 s43, s43
	s_delay_alu instid0(SALU_CYCLE_1)
	v_mov_b32_e32 v3, s43
	ds_add_rtn_u32 v3, v10, v3 offset:384
.LBB3_49:                               ;   in Loop: Header=BB3_45 Depth=2
	s_or_b32 exec_lo, exec_lo, s42
	s_waitcnt lgkmcnt(0)
	v_readfirstlane_b32 s42, v3
	s_delay_alu instid0(VALU_DEP_1) | instskip(NEXT) | instid1(VALU_DEP_1)
	v_add_nc_u32_e32 v2, s42, v2
	v_ashrrev_i32_e32 v3, 31, v2
	s_delay_alu instid0(VALU_DEP_1) | instskip(NEXT) | instid1(VALU_DEP_1)
	v_lshlrev_b64 v[2:3], 2, v[2:3]
	v_add_co_u32 v2, vcc_lo, s27, v2
	s_delay_alu instid0(VALU_DEP_2)
	v_add_co_ci_u32_e32 v3, vcc_lo, s28, v3, vcc_lo
	global_store_b32 v[2:3], v1, off
.LBB3_50:                               ;   in Loop: Header=BB3_45 Depth=2
	s_or_b32 exec_lo, exec_lo, s41
                                        ; implicit-def: $vgpr2
                                        ; implicit-def: $vgpr3
.LBB3_51:                               ;   in Loop: Header=BB3_45 Depth=2
	s_and_not1_saveexec_b32 s25, s25
	s_cbranch_execz .LBB3_44
; %bb.52:                               ;   in Loop: Header=BB3_45 Depth=2
	s_mov_b32 s42, exec_lo
	s_mov_b32 s41, exec_lo
	v_mbcnt_lo_u32_b32 v5, s42, 0
                                        ; implicit-def: $vgpr6
	s_delay_alu instid0(VALU_DEP_1)
	v_cmpx_eq_u32_e32 0, v5
	s_cbranch_execz .LBB3_43
; %bb.53:                               ;   in Loop: Header=BB3_45 Depth=2
	s_bcnt1_i32_b32 s42, s42
	s_delay_alu instid0(SALU_CYCLE_1)
	v_mov_b32_e32 v6, s42
	ds_add_rtn_u32 v6, v10, v6 offset:128
	s_branch .LBB3_43
.LBB3_54:                               ;   in Loop: Header=BB3_12 Depth=1
	s_or_b32 exec_lo, exec_lo, s22
	s_mov_b32 s22, 0
.LBB3_55:                               ;   in Loop: Header=BB3_12 Depth=1
	s_cbranch_execnz .LBB3_62
.LBB3_56:                               ;   in Loop: Header=BB3_12 Depth=1
	s_mov_b32 s1, exec_lo
	v_cmpx_gt_i32_e64 s40, v0
	s_cbranch_execz .LBB3_61
; %bb.57:                               ;   in Loop: Header=BB3_12 Depth=1
	v_mov_b32_e32 v1, v0
	s_lshl_b32 s22, -1, s24
	s_mov_b32 s23, 0
	s_set_inst_prefetch_distance 0x1
	s_branch .LBB3_59
	.p2align	6
.LBB3_58:                               ;   in Loop: Header=BB3_59 Depth=2
	s_or_b32 exec_lo, exec_lo, s24
	v_add_nc_u32_e32 v1, s29, v1
	s_delay_alu instid0(VALU_DEP_1) | instskip(SKIP_1) | instid1(SALU_CYCLE_1)
	v_cmp_le_i32_e32 vcc_lo, s40, v1
	s_or_b32 s23, vcc_lo, s23
	s_and_not1_b32 exec_lo, exec_lo, s23
	s_cbranch_execz .LBB3_61
.LBB3_59:                               ;   Parent Loop BB3_12 Depth=1
                                        ; =>  This Inner Loop Header: Depth=2
	v_ashrrev_i32_e32 v2, 31, v1
	s_mov_b32 s24, exec_lo
	s_delay_alu instid0(VALU_DEP_1) | instskip(NEXT) | instid1(VALU_DEP_1)
	v_lshlrev_b64 v[2:3], 2, v[1:2]
	v_add_co_u32 v2, vcc_lo, s20, v2
	s_delay_alu instid0(VALU_DEP_2) | instskip(SKIP_4) | instid1(VALU_DEP_1)
	v_add_co_ci_u32_e32 v3, vcc_lo, s21, v3, vcc_lo
	global_load_b32 v2, v[2:3], off
	s_waitcnt vmcnt(0)
	v_cmp_gt_f32_e32 vcc_lo, 0, v2
	v_cndmask_b32_e64 v3, 0x7fffffff, 0, vcc_lo
	v_xor_b32_e32 v2, v3, v2
	s_delay_alu instid0(VALU_DEP_1) | instskip(SKIP_1) | instid1(VALU_DEP_1)
	v_and_b32_e32 v3, s22, v2
	s_waitcnt lgkmcnt(0)
	v_cmpx_eq_u32_e64 v3, v4
	s_cbranch_execz .LBB3_58
; %bb.60:                               ;   in Loop: Header=BB3_59 Depth=2
	v_lshrrev_b32_e32 v2, s18, v2
	s_delay_alu instid0(VALU_DEP_1) | instskip(NEXT) | instid1(VALU_DEP_1)
	v_and_b32_e32 v2, s39, v2
	v_lshlrev_b32_e32 v2, 2, v2
	ds_add_u32 v2, v16 offset:640
	s_branch .LBB3_58
.LBB3_61:                               ;   in Loop: Header=BB3_12 Depth=1
	s_set_inst_prefetch_distance 0x2
	s_or_b32 exec_lo, exec_lo, s1
	s_mov_b32 s22, 0
.LBB3_62:                               ;   in Loop: Header=BB3_12 Depth=1
	s_cbranch_execnz .LBB3_121
.LBB3_63:                               ;   in Loop: Header=BB3_12 Depth=1
	s_and_b32 s24, s20, 15
	s_mov_b32 s25, 0
	s_sub_i32 s1, 16, s24
	v_dual_mov_b32 v22, -1 :: v_dual_mov_b32 v23, 0
	s_lshr_b32 s1, s1, 2
	s_cmp_lg_u64 s[24:25], 0
	v_mov_b32_e32 v21, 0x7f7fffff
	s_cselect_b32 s1, s1, 0
	v_mov_b32_e32 v20, 0xff7fffff
	s_min_i32 s22, s1, s40
	s_mov_b32 s24, exec_lo
	s_sub_i32 s1, s40, s22
                                        ; implicit-def: $vgpr4
	s_delay_alu instid0(SALU_CYCLE_1) | instskip(NEXT) | instid1(SALU_CYCLE_1)
	s_ashr_i32 s23, s1, 31
	s_lshr_b32 s23, s23, 30
	s_delay_alu instid0(SALU_CYCLE_1) | instskip(NEXT) | instid1(SALU_CYCLE_1)
	s_add_i32 s1, s1, s23
	s_ashr_i32 s1, s1, 2
	s_delay_alu instid0(SALU_CYCLE_1)
	v_cmpx_gt_i32_e64 s1, v0
	s_cbranch_execz .LBB3_91
; %bb.64:                               ;   in Loop: Header=BB3_12 Depth=1
	s_ashr_i32 s23, s22, 31
	v_dual_mov_b32 v20, 0xff7fffff :: v_dual_mov_b32 v23, 0
	s_lshl_b64 s[42:43], s[22:23], 2
	v_dual_mov_b32 v21, 0x7f7fffff :: v_dual_mov_b32 v22, -1
	v_mov_b32_e32 v5, v0
	s_add_u32 s23, s20, s42
	s_addc_u32 s41, s21, s43
	s_branch .LBB3_66
.LBB3_65:                               ;   in Loop: Header=BB3_66 Depth=2
	s_or_b32 exec_lo, exec_lo, s42
	v_and_b32_e32 v6, 0x7ff, v25
	v_add_nc_u32_e32 v5, s29, v5
	s_delay_alu instid0(VALU_DEP_2) | instskip(NEXT) | instid1(VALU_DEP_2)
	v_lshlrev_b32_e32 v6, 2, v6
	v_cmp_le_i32_e32 vcc_lo, s1, v5
	ds_add_u32 v6, v16 offset:8832
	v_min3_f32 v6, v21, v1, v2
	v_max3_f32 v1, v20, v1, v2
	s_or_b32 s25, vcc_lo, s25
	s_delay_alu instid0(VALU_DEP_2) | instskip(NEXT) | instid1(VALU_DEP_2)
	v_min3_f32 v21, v6, v3, v4
	v_max3_f32 v20, v1, v3, v4
	s_and_not1_b32 exec_lo, exec_lo, s25
	s_cbranch_execz .LBB3_90
.LBB3_66:                               ;   Parent Loop BB3_12 Depth=1
                                        ; =>  This Inner Loop Header: Depth=2
	s_delay_alu instid0(VALU_DEP_1) | instskip(SKIP_1) | instid1(VALU_DEP_1)
	v_ashrrev_i32_e32 v6, 31, v5
	s_mov_b32 s42, exec_lo
                                        ; implicit-def: $sgpr43
	v_lshlrev_b64 v[1:2], 4, v[5:6]
	s_delay_alu instid0(VALU_DEP_1) | instskip(NEXT) | instid1(VALU_DEP_2)
	v_add_co_u32 v1, vcc_lo, s23, v1
	v_add_co_ci_u32_e32 v2, vcc_lo, s41, v2, vcc_lo
	s_waitcnt lgkmcnt(0)
	global_load_b128 v[1:4], v[1:2], off
	s_waitcnt vmcnt(0)
	v_cmp_gt_f32_e32 vcc_lo, 0, v1
	v_cndmask_b32_e64 v6, 0x7fffffff, 0, vcc_lo
	s_delay_alu instid0(VALU_DEP_1) | instskip(NEXT) | instid1(VALU_DEP_1)
	v_xor_b32_e32 v25, v6, v1
	v_lshrrev_b32_e32 v6, s18, v25
	s_delay_alu instid0(VALU_DEP_1) | instskip(NEXT) | instid1(VALU_DEP_1)
	v_and_b32_e32 v6, s39, v6
	v_cmpx_ne_u32_e64 v6, v22
	s_xor_b32 s42, exec_lo, s42
	s_cbranch_execz .LBB3_70
; %bb.67:                               ;   in Loop: Header=BB3_66 Depth=2
	s_mov_b32 s43, exec_lo
	v_cmpx_lt_i32_e32 0, v23
	s_cbranch_execz .LBB3_69
; %bb.68:                               ;   in Loop: Header=BB3_66 Depth=2
	v_lshlrev_b32_e32 v22, 2, v22
	ds_add_u32 v22, v23 offset:640
.LBB3_69:                               ;   in Loop: Header=BB3_66 Depth=2
	s_or_b32 exec_lo, exec_lo, s43
	s_mov_b32 s43, 1
                                        ; implicit-def: $vgpr23
                                        ; implicit-def: $vgpr22
.LBB3_70:                               ;   in Loop: Header=BB3_66 Depth=2
	s_or_saveexec_b32 s42, s42
	v_mov_b32_e32 v24, s43
	s_xor_b32 exec_lo, exec_lo, s42
; %bb.71:                               ;   in Loop: Header=BB3_66 Depth=2
	v_add_nc_u32_e32 v24, 1, v23
	v_mov_b32_e32 v6, v22
; %bb.72:                               ;   in Loop: Header=BB3_66 Depth=2
	s_or_b32 exec_lo, exec_lo, s42
	v_and_b32_e32 v22, 0x7ff, v25
	v_cmp_gt_f32_e32 vcc_lo, 0, v2
	s_mov_b32 s42, exec_lo
                                        ; implicit-def: $sgpr43
	s_delay_alu instid0(VALU_DEP_2) | instskip(SKIP_3) | instid1(VALU_DEP_1)
	v_lshlrev_b32_e32 v22, 2, v22
	v_cndmask_b32_e64 v23, 0x7fffffff, 0, vcc_lo
	ds_add_u32 v22, v16 offset:8832
	v_xor_b32_e32 v25, v23, v2
	v_lshrrev_b32_e32 v22, s18, v25
	s_delay_alu instid0(VALU_DEP_1) | instskip(NEXT) | instid1(VALU_DEP_1)
	v_and_b32_e32 v22, s39, v22
	v_cmpx_ne_u32_e64 v22, v6
	s_xor_b32 s42, exec_lo, s42
	s_cbranch_execz .LBB3_76
; %bb.73:                               ;   in Loop: Header=BB3_66 Depth=2
	s_mov_b32 s43, exec_lo
	v_cmpx_lt_i32_e32 0, v24
	s_cbranch_execz .LBB3_75
; %bb.74:                               ;   in Loop: Header=BB3_66 Depth=2
	v_lshlrev_b32_e32 v6, 2, v6
	ds_add_u32 v6, v24 offset:640
.LBB3_75:                               ;   in Loop: Header=BB3_66 Depth=2
	s_or_b32 exec_lo, exec_lo, s43
	s_mov_b32 s43, 1
                                        ; implicit-def: $vgpr24
                                        ; implicit-def: $vgpr6
.LBB3_76:                               ;   in Loop: Header=BB3_66 Depth=2
	s_or_saveexec_b32 s42, s42
	v_mov_b32_e32 v23, s43
	s_xor_b32 exec_lo, exec_lo, s42
; %bb.77:                               ;   in Loop: Header=BB3_66 Depth=2
	v_dual_mov_b32 v22, v6 :: v_dual_add_nc_u32 v23, 1, v24
; %bb.78:                               ;   in Loop: Header=BB3_66 Depth=2
	s_or_b32 exec_lo, exec_lo, s42
	v_and_b32_e32 v6, 0x7ff, v25
	v_cmp_gt_f32_e32 vcc_lo, 0, v3
	s_mov_b32 s42, exec_lo
                                        ; implicit-def: $sgpr43
	s_delay_alu instid0(VALU_DEP_2) | instskip(SKIP_3) | instid1(VALU_DEP_1)
	v_lshlrev_b32_e32 v6, 2, v6
	v_cndmask_b32_e64 v24, 0x7fffffff, 0, vcc_lo
	ds_add_u32 v6, v16 offset:8832
	v_xor_b32_e32 v25, v24, v3
	v_lshrrev_b32_e32 v6, s18, v25
	s_delay_alu instid0(VALU_DEP_1) | instskip(NEXT) | instid1(VALU_DEP_1)
	v_and_b32_e32 v6, s39, v6
	v_cmpx_ne_u32_e64 v6, v22
	s_xor_b32 s42, exec_lo, s42
	s_cbranch_execz .LBB3_82
; %bb.79:                               ;   in Loop: Header=BB3_66 Depth=2
	s_mov_b32 s43, exec_lo
	v_cmpx_lt_i32_e32 0, v23
	s_cbranch_execz .LBB3_81
; %bb.80:                               ;   in Loop: Header=BB3_66 Depth=2
	v_lshlrev_b32_e32 v22, 2, v22
	ds_add_u32 v22, v23 offset:640
.LBB3_81:                               ;   in Loop: Header=BB3_66 Depth=2
	s_or_b32 exec_lo, exec_lo, s43
	s_mov_b32 s43, 1
                                        ; implicit-def: $vgpr23
                                        ; implicit-def: $vgpr22
.LBB3_82:                               ;   in Loop: Header=BB3_66 Depth=2
	s_or_saveexec_b32 s42, s42
	v_mov_b32_e32 v24, s43
	s_xor_b32 exec_lo, exec_lo, s42
; %bb.83:                               ;   in Loop: Header=BB3_66 Depth=2
	v_add_nc_u32_e32 v24, 1, v23
	v_mov_b32_e32 v6, v22
; %bb.84:                               ;   in Loop: Header=BB3_66 Depth=2
	s_or_b32 exec_lo, exec_lo, s42
	v_and_b32_e32 v22, 0x7ff, v25
	v_cmp_gt_f32_e32 vcc_lo, 0, v4
	s_mov_b32 s42, exec_lo
                                        ; implicit-def: $sgpr43
	s_delay_alu instid0(VALU_DEP_2) | instskip(SKIP_3) | instid1(VALU_DEP_1)
	v_lshlrev_b32_e32 v22, 2, v22
	v_cndmask_b32_e64 v23, 0x7fffffff, 0, vcc_lo
	ds_add_u32 v22, v16 offset:8832
	v_xor_b32_e32 v25, v23, v4
	v_lshrrev_b32_e32 v22, s18, v25
	s_delay_alu instid0(VALU_DEP_1) | instskip(NEXT) | instid1(VALU_DEP_1)
	v_and_b32_e32 v22, s39, v22
	v_cmpx_ne_u32_e64 v22, v6
	s_xor_b32 s42, exec_lo, s42
	s_cbranch_execz .LBB3_88
; %bb.85:                               ;   in Loop: Header=BB3_66 Depth=2
	s_mov_b32 s43, exec_lo
	v_cmpx_lt_i32_e32 0, v24
	s_cbranch_execz .LBB3_87
; %bb.86:                               ;   in Loop: Header=BB3_66 Depth=2
	v_lshlrev_b32_e32 v6, 2, v6
	ds_add_u32 v6, v24 offset:640
.LBB3_87:                               ;   in Loop: Header=BB3_66 Depth=2
	s_or_b32 exec_lo, exec_lo, s43
	s_mov_b32 s43, 1
                                        ; implicit-def: $vgpr24
                                        ; implicit-def: $vgpr6
.LBB3_88:                               ;   in Loop: Header=BB3_66 Depth=2
	s_or_saveexec_b32 s42, s42
	v_mov_b32_e32 v23, s43
	s_xor_b32 exec_lo, exec_lo, s42
	s_cbranch_execz .LBB3_65
; %bb.89:                               ;   in Loop: Header=BB3_66 Depth=2
	v_dual_mov_b32 v22, v6 :: v_dual_add_nc_u32 v23, 1, v24
	s_branch .LBB3_65
.LBB3_90:                               ;   in Loop: Header=BB3_12 Depth=1
	s_or_b32 exec_lo, exec_lo, s25
.LBB3_91:                               ;   in Loop: Header=BB3_12 Depth=1
	s_delay_alu instid0(SALU_CYCLE_1) | instskip(NEXT) | instid1(SALU_CYCLE_1)
	s_or_b32 exec_lo, exec_lo, s24
	s_mov_b32 s23, exec_lo
	v_cmpx_gt_u32_e64 s22, v0
	s_cbranch_execz .LBB3_99
; %bb.92:                               ;   in Loop: Header=BB3_12 Depth=1
	s_waitcnt lgkmcnt(0)
	global_load_b32 v4, v17, s[20:21]
	s_mov_b32 s24, exec_lo
                                        ; implicit-def: $sgpr25
	s_waitcnt vmcnt(0)
	v_cmp_gt_f32_e32 vcc_lo, 0, v4
	v_cndmask_b32_e64 v1, 0x7fffffff, 0, vcc_lo
	s_delay_alu instid0(VALU_DEP_1) | instskip(NEXT) | instid1(VALU_DEP_1)
	v_xor_b32_e32 v2, v1, v4
	v_lshrrev_b32_e32 v1, s18, v2
	s_delay_alu instid0(VALU_DEP_1) | instskip(NEXT) | instid1(VALU_DEP_1)
	v_and_b32_e32 v1, s39, v1
	v_cmpx_ne_u32_e64 v1, v22
	s_xor_b32 s24, exec_lo, s24
	s_cbranch_execz .LBB3_96
; %bb.93:                               ;   in Loop: Header=BB3_12 Depth=1
	s_mov_b32 s25, exec_lo
	v_cmpx_lt_i32_e32 0, v23
	s_cbranch_execz .LBB3_95
; %bb.94:                               ;   in Loop: Header=BB3_12 Depth=1
	v_lshlrev_b32_e32 v3, 2, v22
	ds_add_u32 v3, v23 offset:640
.LBB3_95:                               ;   in Loop: Header=BB3_12 Depth=1
	s_or_b32 exec_lo, exec_lo, s25
	s_mov_b32 s25, 1
                                        ; implicit-def: $vgpr23
                                        ; implicit-def: $vgpr22
.LBB3_96:                               ;   in Loop: Header=BB3_12 Depth=1
	s_or_saveexec_b32 s24, s24
	v_mov_b32_e32 v3, s25
	s_xor_b32 exec_lo, exec_lo, s24
; %bb.97:                               ;   in Loop: Header=BB3_12 Depth=1
	v_add_nc_u32_e32 v3, 1, v23
	v_mov_b32_e32 v1, v22
; %bb.98:                               ;   in Loop: Header=BB3_12 Depth=1
	s_or_b32 exec_lo, exec_lo, s24
	v_dual_max_f32 v5, v4, v4 :: v_dual_and_b32 v2, 0x7ff, v2
	s_delay_alu instid0(VALU_DEP_2) | instskip(NEXT) | instid1(VALU_DEP_2)
	v_dual_mov_b32 v22, v1 :: v_dual_mov_b32 v23, v3
	v_lshlrev_b32_e32 v2, 2, v2
	ds_add_u32 v2, v16 offset:8832
	v_max_f32_e32 v2, v21, v21
	s_delay_alu instid0(VALU_DEP_1) | instskip(NEXT) | instid1(VALU_DEP_1)
	v_dual_max_f32 v6, v20, v20 :: v_dual_min_f32 v21, v2, v5
	v_max_f32_e32 v20, v6, v5
.LBB3_99:                               ;   in Loop: Header=BB3_12 Depth=1
	s_or_b32 exec_lo, exec_lo, s23
	s_lshl_b32 s1, s1, 2
	s_delay_alu instid0(SALU_CYCLE_1) | instskip(SKIP_1) | instid1(VALU_DEP_1)
	v_add3_u32 v1, s1, s22, v0
	s_mov_b32 s1, exec_lo
	v_cmpx_gt_i32_e64 s40, v1
	s_cbranch_execz .LBB3_107
; %bb.100:                              ;   in Loop: Header=BB3_12 Depth=1
	v_ashrrev_i32_e32 v2, 31, v1
	s_delay_alu instid0(VALU_DEP_1) | instskip(NEXT) | instid1(VALU_DEP_1)
	v_lshlrev_b64 v[1:2], 2, v[1:2]
	v_add_co_u32 v1, vcc_lo, s20, v1
	s_delay_alu instid0(VALU_DEP_2)
	v_add_co_ci_u32_e32 v2, vcc_lo, s21, v2, vcc_lo
	s_mov_b32 s20, exec_lo
                                        ; implicit-def: $sgpr21
	s_waitcnt lgkmcnt(0)
	global_load_b32 v4, v[1:2], off
	s_waitcnt vmcnt(0)
	v_cmp_gt_f32_e32 vcc_lo, 0, v4
	v_cndmask_b32_e64 v1, 0x7fffffff, 0, vcc_lo
	s_delay_alu instid0(VALU_DEP_1) | instskip(NEXT) | instid1(VALU_DEP_1)
	v_xor_b32_e32 v2, v1, v4
	v_lshrrev_b32_e32 v1, s18, v2
	s_delay_alu instid0(VALU_DEP_1) | instskip(NEXT) | instid1(VALU_DEP_1)
	v_and_b32_e32 v1, s39, v1
	v_cmpx_ne_u32_e64 v1, v22
	s_xor_b32 s20, exec_lo, s20
	s_cbranch_execz .LBB3_104
; %bb.101:                              ;   in Loop: Header=BB3_12 Depth=1
	s_mov_b32 s21, exec_lo
	v_cmpx_lt_i32_e32 0, v23
	s_cbranch_execz .LBB3_103
; %bb.102:                              ;   in Loop: Header=BB3_12 Depth=1
	v_lshlrev_b32_e32 v3, 2, v22
	ds_add_u32 v3, v23 offset:640
.LBB3_103:                              ;   in Loop: Header=BB3_12 Depth=1
	s_or_b32 exec_lo, exec_lo, s21
	s_mov_b32 s21, 1
                                        ; implicit-def: $vgpr23
                                        ; implicit-def: $vgpr22
.LBB3_104:                              ;   in Loop: Header=BB3_12 Depth=1
	s_or_saveexec_b32 s20, s20
	v_mov_b32_e32 v3, s21
	s_xor_b32 exec_lo, exec_lo, s20
; %bb.105:                              ;   in Loop: Header=BB3_12 Depth=1
	v_add_nc_u32_e32 v3, 1, v23
	v_mov_b32_e32 v1, v22
; %bb.106:                              ;   in Loop: Header=BB3_12 Depth=1
	s_or_b32 exec_lo, exec_lo, s20
	v_dual_max_f32 v5, v4, v4 :: v_dual_and_b32 v2, 0x7ff, v2
	s_delay_alu instid0(VALU_DEP_2) | instskip(NEXT) | instid1(VALU_DEP_2)
	v_dual_mov_b32 v22, v1 :: v_dual_mov_b32 v23, v3
	v_lshlrev_b32_e32 v2, 2, v2
	ds_add_u32 v2, v16 offset:8832
	v_max_f32_e32 v2, v21, v21
	s_delay_alu instid0(VALU_DEP_1) | instskip(NEXT) | instid1(VALU_DEP_1)
	v_dual_max_f32 v6, v20, v20 :: v_dual_min_f32 v21, v2, v5
	v_max_f32_e32 v20, v6, v5
.LBB3_107:                              ;   in Loop: Header=BB3_12 Depth=1
	s_or_b32 exec_lo, exec_lo, s1
	s_delay_alu instid0(SALU_CYCLE_1)
	s_mov_b32 s1, exec_lo
	v_cmpx_lt_i32_e32 0, v23
	s_cbranch_execz .LBB3_110
; %bb.108:                              ;   in Loop: Header=BB3_12 Depth=1
	s_waitcnt lgkmcnt(0)
	v_cmp_lt_f32_e32 vcc_lo, 0, v4
	v_xor_b32_e32 v1, 0x80000000, v4
	v_cndmask_b32_e64 v2, 0x7fffffff, 0, vcc_lo
	s_delay_alu instid0(VALU_DEP_1) | instskip(NEXT) | instid1(VALU_DEP_1)
	v_xor_b32_e32 v1, v2, v1
	v_lshrrev_b32_e32 v1, s18, v1
	s_delay_alu instid0(VALU_DEP_1) | instskip(NEXT) | instid1(VALU_DEP_1)
	v_and_b32_e32 v1, s39, v1
	v_cmp_ne_u32_e32 vcc_lo, v1, v22
	s_and_b32 exec_lo, exec_lo, vcc_lo
	s_cbranch_execz .LBB3_110
; %bb.109:                              ;   in Loop: Header=BB3_12 Depth=1
	v_lshlrev_b32_e32 v1, 2, v22
	ds_add_u32 v1, v23 offset:640
.LBB3_110:                              ;   in Loop: Header=BB3_12 Depth=1
	s_or_b32 exec_lo, exec_lo, s1
	v_mov_b32_dpp v1, v21 quad_perm:[1,0,3,2] row_mask:0xf bank_mask:0xf
	s_delay_alu instid0(VALU_DEP_1) | instskip(SKIP_1) | instid1(VALU_DEP_1)
	v_cmp_lt_f32_e32 vcc_lo, v21, v1
	v_cndmask_b32_e32 v1, v1, v21, vcc_lo
	v_mov_b32_dpp v2, v1 quad_perm:[2,3,0,1] row_mask:0xf bank_mask:0xf
	s_delay_alu instid0(VALU_DEP_1) | instskip(SKIP_1) | instid1(VALU_DEP_1)
	v_cmp_lt_f32_e32 vcc_lo, v1, v2
	v_cndmask_b32_e32 v1, v2, v1, vcc_lo
	v_mov_b32_dpp v2, v1 row_ror:4 row_mask:0xf bank_mask:0xf
	s_delay_alu instid0(VALU_DEP_1) | instskip(SKIP_1) | instid1(VALU_DEP_1)
	v_cmp_lt_f32_e32 vcc_lo, v1, v2
	v_cndmask_b32_e32 v1, v2, v1, vcc_lo
	v_mov_b32_dpp v2, v1 row_ror:8 row_mask:0xf bank_mask:0xf
	s_delay_alu instid0(VALU_DEP_1)
	v_cmp_lt_f32_e32 vcc_lo, v1, v2
	v_cndmask_b32_e32 v1, v2, v1, vcc_lo
	ds_swizzle_b32 v2, v1 offset:swizzle(BROADCAST,32,15)
	s_waitcnt lgkmcnt(0)
	v_cmp_lt_f32_e32 vcc_lo, v1, v2
	v_cndmask_b32_e32 v1, v2, v1, vcc_lo
	v_cmp_eq_u32_e32 vcc_lo, 0, v19
	ds_bpermute_b32 v1, v10, v1 offset:124
	s_and_saveexec_b32 s1, vcc_lo
	s_cbranch_execz .LBB3_112
; %bb.111:                              ;   in Loop: Header=BB3_12 Depth=1
	s_waitcnt lgkmcnt(0)
	ds_store_b32 v11, v1
.LBB3_112:                              ;   in Loop: Header=BB3_12 Depth=1
	s_or_b32 exec_lo, exec_lo, s1
	v_lshlrev_b32_e32 v2, 2, v19
	s_waitcnt lgkmcnt(0)
	s_waitcnt_vscnt null, 0x0
	s_barrier
	buffer_gl0_inv
	s_and_saveexec_b32 s20, s0
	s_cbranch_execz .LBB3_114
; %bb.113:                              ;   in Loop: Header=BB3_12 Depth=1
	ds_load_b32 v1, v2 offset:25472
	s_waitcnt lgkmcnt(0)
	v_mov_b32_dpp v3, v1 quad_perm:[1,0,3,2] row_mask:0xf bank_mask:0xf
	s_delay_alu instid0(VALU_DEP_1) | instskip(NEXT) | instid1(VALU_DEP_1)
	v_cmp_lt_f32_e64 s1, v1, v3
	v_cndmask_b32_e64 v1, v3, v1, s1
	s_delay_alu instid0(VALU_DEP_1) | instskip(NEXT) | instid1(VALU_DEP_1)
	v_mov_b32_dpp v3, v1 quad_perm:[2,3,0,1] row_mask:0xf bank_mask:0xf
	v_cmp_lt_f32_e64 s1, v1, v3
	s_delay_alu instid0(VALU_DEP_1) | instskip(NEXT) | instid1(VALU_DEP_1)
	v_cndmask_b32_e64 v1, v3, v1, s1
	v_mov_b32_dpp v3, v1 row_ror:4 row_mask:0xf bank_mask:0xf
	s_delay_alu instid0(VALU_DEP_1) | instskip(NEXT) | instid1(VALU_DEP_1)
	v_cmp_lt_f32_e64 s1, v1, v3
	v_cndmask_b32_e64 v1, v3, v1, s1
	s_delay_alu instid0(VALU_DEP_1) | instskip(NEXT) | instid1(VALU_DEP_1)
	v_mov_b32_dpp v3, v1 row_ror:8 row_mask:0xf bank_mask:0xf
	v_cmp_lt_f32_e64 s1, v1, v3
	s_delay_alu instid0(VALU_DEP_1) | instskip(SKIP_3) | instid1(VALU_DEP_1)
	v_cndmask_b32_e64 v1, v3, v1, s1
	ds_swizzle_b32 v3, v1 offset:swizzle(BROADCAST,32,15)
	s_waitcnt lgkmcnt(0)
	v_cmp_lt_f32_e64 s1, v1, v3
	v_cndmask_b32_e64 v1, v3, v1, s1
	ds_bpermute_b32 v1, v18, v1
.LBB3_114:                              ;   in Loop: Header=BB3_12 Depth=1
	s_or_b32 exec_lo, exec_lo, s20
	v_mov_b32_dpp v3, v20 quad_perm:[1,0,3,2] row_mask:0xf bank_mask:0xf
	s_delay_alu instid0(VALU_DEP_1) | instskip(NEXT) | instid1(VALU_DEP_1)
	v_cmp_gt_f32_e64 s1, v20, v3
	v_cndmask_b32_e64 v3, v3, v20, s1
	s_delay_alu instid0(VALU_DEP_1) | instskip(NEXT) | instid1(VALU_DEP_1)
	v_mov_b32_dpp v4, v3 quad_perm:[2,3,0,1] row_mask:0xf bank_mask:0xf
	v_cmp_gt_f32_e64 s1, v3, v4
	s_delay_alu instid0(VALU_DEP_1) | instskip(NEXT) | instid1(VALU_DEP_1)
	v_cndmask_b32_e64 v3, v4, v3, s1
	v_mov_b32_dpp v4, v3 row_ror:4 row_mask:0xf bank_mask:0xf
	s_delay_alu instid0(VALU_DEP_1) | instskip(NEXT) | instid1(VALU_DEP_1)
	v_cmp_gt_f32_e64 s1, v3, v4
	v_cndmask_b32_e64 v3, v4, v3, s1
	s_delay_alu instid0(VALU_DEP_1) | instskip(NEXT) | instid1(VALU_DEP_1)
	v_mov_b32_dpp v4, v3 row_ror:8 row_mask:0xf bank_mask:0xf
	v_cmp_gt_f32_e64 s1, v3, v4
	s_delay_alu instid0(VALU_DEP_1) | instskip(SKIP_3) | instid1(VALU_DEP_1)
	v_cndmask_b32_e64 v3, v4, v3, s1
	ds_swizzle_b32 v4, v3 offset:swizzle(BROADCAST,32,15)
	s_waitcnt lgkmcnt(0)
	v_cmp_gt_f32_e64 s1, v3, v4
	v_cndmask_b32_e64 v3, v4, v3, s1
	ds_bpermute_b32 v3, v18, v3
	s_and_saveexec_b32 s1, vcc_lo
	s_cbranch_execz .LBB3_116
; %bb.115:                              ;   in Loop: Header=BB3_12 Depth=1
	s_waitcnt lgkmcnt(0)
	ds_store_b32 v11, v3
.LBB3_116:                              ;   in Loop: Header=BB3_12 Depth=1
	s_or_b32 exec_lo, exec_lo, s1
	s_waitcnt lgkmcnt(0)
	s_barrier
	buffer_gl0_inv
	s_and_saveexec_b32 s1, s0
	s_cbranch_execz .LBB3_118
; %bb.117:                              ;   in Loop: Header=BB3_12 Depth=1
	ds_load_b32 v2, v2 offset:25472
	s_waitcnt lgkmcnt(0)
	v_mov_b32_dpp v3, v2 quad_perm:[1,0,3,2] row_mask:0xf bank_mask:0xf
	s_delay_alu instid0(VALU_DEP_1) | instskip(SKIP_1) | instid1(VALU_DEP_1)
	v_cmp_gt_f32_e32 vcc_lo, v2, v3
	v_cndmask_b32_e32 v2, v3, v2, vcc_lo
	v_mov_b32_dpp v3, v2 quad_perm:[2,3,0,1] row_mask:0xf bank_mask:0xf
	s_delay_alu instid0(VALU_DEP_1) | instskip(SKIP_1) | instid1(VALU_DEP_1)
	v_cmp_gt_f32_e32 vcc_lo, v2, v3
	v_cndmask_b32_e32 v2, v3, v2, vcc_lo
	v_mov_b32_dpp v3, v2 row_ror:4 row_mask:0xf bank_mask:0xf
	s_delay_alu instid0(VALU_DEP_1) | instskip(SKIP_1) | instid1(VALU_DEP_1)
	v_cmp_gt_f32_e32 vcc_lo, v2, v3
	v_cndmask_b32_e32 v2, v3, v2, vcc_lo
	v_mov_b32_dpp v3, v2 row_ror:8 row_mask:0xf bank_mask:0xf
	s_delay_alu instid0(VALU_DEP_1)
	v_cmp_gt_f32_e32 vcc_lo, v2, v3
	v_cndmask_b32_e32 v2, v3, v2, vcc_lo
	ds_swizzle_b32 v3, v2 offset:swizzle(BROADCAST,32,15)
	s_waitcnt lgkmcnt(0)
	v_cmp_gt_f32_e32 vcc_lo, v2, v3
	v_cndmask_b32_e32 v2, v3, v2, vcc_lo
	ds_bpermute_b32 v3, v18, v2
.LBB3_118:                              ;   in Loop: Header=BB3_12 Depth=1
	s_or_b32 exec_lo, exec_lo, s1
	s_and_saveexec_b32 s1, s3
	s_cbranch_execz .LBB3_120
; %bb.119:                              ;   in Loop: Header=BB3_12 Depth=1
	v_cmp_gt_f32_e32 vcc_lo, 0, v1
	v_cndmask_b32_e64 v2, 0x7ffff800, 0, vcc_lo
	s_waitcnt lgkmcnt(0)
	v_cmp_gt_f32_e32 vcc_lo, 0, v3
	v_cndmask_b32_e64 v4, 0x7ffff800, 0, vcc_lo
	s_delay_alu instid0(VALU_DEP_1) | instskip(NEXT) | instid1(VALU_DEP_1)
	v_xor_b32_e32 v2, v2, v4
	v_xor3_b32 v1, v2, v1, v3
	s_delay_alu instid0(VALU_DEP_1)
	v_cmp_gt_u32_e32 vcc_lo, 0x800, v1
	v_cndmask_b32_e64 v1, 0, 1, vcc_lo
	ds_store_b8 v10, v1 offset:25600
.LBB3_120:                              ;   in Loop: Header=BB3_12 Depth=1
	s_or_b32 exec_lo, exec_lo, s1
	s_waitcnt lgkmcnt(0)
	s_barrier
	buffer_gl0_inv
	ds_load_u8 v1, v10 offset:25600
	s_waitcnt lgkmcnt(0)
	v_readfirstlane_b32 s1, v1
	s_delay_alu instid0(VALU_DEP_1)
	s_bitcmp1_b32 s1, 0
	s_cselect_b32 s22, -1, 0
.LBB3_121:                              ;   in Loop: Header=BB3_12 Depth=1
	s_delay_alu instid0(SALU_CYCLE_1)
	s_and_b32 s1, s22, exec_lo
	s_cselect_b32 s1, 0x800, 0
	s_waitcnt lgkmcnt(0)
	s_waitcnt_vscnt null, 0x0
	v_or_b32_e32 v1, s1, v0
	v_mov_b32_e32 v2, s19
	s_barrier
	buffer_gl0_inv
	v_dual_mov_b32 v4, s19 :: v_dual_lshlrev_b32 v3, 2, v1
	s_delay_alu instid0(VALU_DEP_1)
	v_add_nc_u32_e32 v1, 0x280, v3
	v_add_nc_u32_e32 v3, 0x1280, v3
	flat_load_b32 v5, v[1:2] glc dlc
	s_waitcnt vmcnt(0)
	flat_load_b32 v6, v[3:4] glc dlc
	s_waitcnt vmcnt(0) lgkmcnt(1)
	ds_store_b32 v7, v5
	s_waitcnt lgkmcnt(1)
	ds_store_b32 v8, v6 offset:4096
	s_waitcnt lgkmcnt(0)
	s_barrier
	buffer_gl0_inv
	ds_load_2addr_b32 v[5:6], v9 offset1:1
	s_waitcnt lgkmcnt(0)
	s_barrier
	buffer_gl0_inv
	v_add_nc_u32_e32 v20, v6, v5
	ds_store_b32 v7, v20
	s_waitcnt lgkmcnt(0)
	s_barrier
	buffer_gl0_inv
	s_and_saveexec_b32 s20, s0
	s_cbranch_execz .LBB3_123
; %bb.122:                              ;   in Loop: Header=BB3_12 Depth=1
	ds_load_2addr_b32 v[21:22], v12 offset1:1
	ds_load_2addr_b32 v[23:24], v12 offset0:2 offset1:3
	ds_load_2addr_b32 v[25:26], v12 offset0:4 offset1:5
	;; [unrolled: 1-line block ×4, first 2 shown]
	s_waitcnt lgkmcnt(4)
	v_add_nc_u32_e32 v22, v22, v21
	s_waitcnt lgkmcnt(3)
	s_delay_alu instid0(VALU_DEP_1)
	v_add3_u32 v24, v22, v23, v24
	ds_load_2addr_b32 v[22:23], v12 offset0:10 offset1:11
	s_waitcnt lgkmcnt(3)
	v_add3_u32 v26, v24, v25, v26
	ds_load_2addr_b32 v[24:25], v12 offset0:12 offset1:13
	s_waitcnt lgkmcnt(3)
	;; [unrolled: 3-line block ×9, first 2 shown]
	v_add3_u32 v32, v30, v24, v25
	ds_load_2addr_b32 v[24:25], v12 offset0:28 offset1:29
	ds_load_2addr_b32 v[30:31], v12 offset0:30 offset1:31
	; wave barrier
	s_waitcnt lgkmcnt(4)
	v_add3_u32 v26, v32, v26, v27
	s_waitcnt lgkmcnt(3)
	s_delay_alu instid0(VALU_DEP_1) | instskip(SKIP_1) | instid1(VALU_DEP_1)
	v_add3_u32 v26, v26, v28, v29
	s_waitcnt lgkmcnt(2)
	v_add3_u32 v22, v26, v22, v23
	s_waitcnt lgkmcnt(1)
	s_delay_alu instid0(VALU_DEP_1) | instskip(SKIP_2) | instid1(VALU_DEP_2)
	v_add3_u32 v22, v22, v24, v25
	v_bfe_i32 v25, v19, 4, 1
	s_waitcnt lgkmcnt(0)
	v_add3_u32 v22, v22, v30, v31
	s_delay_alu instid0(VALU_DEP_1) | instskip(SKIP_1) | instid1(VALU_DEP_1)
	v_mov_b32_dpp v24, v22 row_shr:1 row_mask:0xf bank_mask:0xf
	v_and_b32_e32 v23, 15, v19
	v_cmp_ne_u32_e32 vcc_lo, 0, v23
	s_delay_alu instid0(VALU_DEP_3) | instskip(SKIP_1) | instid1(VALU_DEP_2)
	v_cndmask_b32_e32 v24, 0, v24, vcc_lo
	v_cmp_lt_u32_e32 vcc_lo, 1, v23
	v_add_nc_u32_e32 v22, v24, v22
	s_delay_alu instid0(VALU_DEP_1) | instskip(NEXT) | instid1(VALU_DEP_1)
	v_mov_b32_dpp v24, v22 row_shr:2 row_mask:0xf bank_mask:0xf
	v_cndmask_b32_e32 v24, 0, v24, vcc_lo
	v_cmp_lt_u32_e32 vcc_lo, 3, v23
	s_delay_alu instid0(VALU_DEP_2) | instskip(NEXT) | instid1(VALU_DEP_1)
	v_add_nc_u32_e32 v22, v22, v24
	v_mov_b32_dpp v24, v22 row_shr:4 row_mask:0xf bank_mask:0xf
	s_delay_alu instid0(VALU_DEP_1) | instskip(SKIP_1) | instid1(VALU_DEP_2)
	v_cndmask_b32_e32 v24, 0, v24, vcc_lo
	v_cmp_lt_u32_e32 vcc_lo, 7, v23
	v_add_nc_u32_e32 v22, v22, v24
	s_delay_alu instid0(VALU_DEP_1) | instskip(NEXT) | instid1(VALU_DEP_1)
	v_mov_b32_dpp v24, v22 row_shr:8 row_mask:0xf bank_mask:0xf
	v_dual_cndmask_b32 v23, 0, v24 :: v_dual_add_nc_u32 v24, -1, v19
	s_delay_alu instid0(VALU_DEP_1) | instskip(NEXT) | instid1(VALU_DEP_2)
	v_add_nc_u32_e32 v22, v22, v23
	v_cmp_gt_i32_e32 vcc_lo, 0, v24
	ds_swizzle_b32 v23, v22 offset:swizzle(BROADCAST,32,15)
	v_cndmask_b32_e32 v24, v24, v19, vcc_lo
	s_delay_alu instid0(VALU_DEP_1) | instskip(SKIP_2) | instid1(VALU_DEP_1)
	v_lshlrev_b32_e32 v24, 2, v24
	s_waitcnt lgkmcnt(0)
	v_and_b32_e32 v23, v25, v23
	v_add_nc_u32_e32 v22, v22, v23
	ds_bpermute_b32 v22, v24, v22
	s_waitcnt lgkmcnt(0)
	v_add_nc_u32_e32 v21, v22, v21
	s_delay_alu instid0(VALU_DEP_1)
	v_cndmask_b32_e64 v29, v21, v20, s3
	ds_store_b32 v12, v29
	; wave barrier
	ds_load_2addr_b32 v[21:22], v12 offset0:1 offset1:2
	ds_load_2addr_b32 v[23:24], v12 offset0:3 offset1:4
	;; [unrolled: 1-line block ×4, first 2 shown]
	s_waitcnt lgkmcnt(3)
	v_add_nc_u32_e32 v29, v21, v29
	s_delay_alu instid0(VALU_DEP_1) | instskip(SKIP_3) | instid1(VALU_DEP_1)
	v_add_nc_u32_e32 v30, v22, v29
	ds_load_2addr_b32 v[21:22], v12 offset0:9 offset1:10
	s_waitcnt lgkmcnt(3)
	v_add_nc_u32_e32 v31, v23, v30
	v_add_nc_u32_e32 v32, v24, v31
	ds_load_2addr_b32 v[23:24], v12 offset0:11 offset1:12
	s_waitcnt lgkmcnt(3)
	v_add_nc_u32_e32 v33, v25, v32
	s_delay_alu instid0(VALU_DEP_1) | instskip(SKIP_1) | instid1(VALU_DEP_1)
	v_add_nc_u32_e32 v34, v26, v33
	s_waitcnt lgkmcnt(2)
	v_add_nc_u32_e32 v35, v27, v34
	s_delay_alu instid0(VALU_DEP_1) | instskip(SKIP_4) | instid1(VALU_DEP_1)
	v_add_nc_u32_e32 v36, v28, v35
	ds_load_2addr_b32 v[25:26], v12 offset0:13 offset1:14
	ds_load_2addr_b32 v[27:28], v12 offset0:15 offset1:16
	s_waitcnt lgkmcnt(3)
	v_add_nc_u32_e32 v37, v21, v36
	v_add_nc_u32_e32 v38, v22, v37
	ds_load_2addr_b32 v[21:22], v12 offset0:17 offset1:18
	s_waitcnt lgkmcnt(3)
	v_add_nc_u32_e32 v39, v23, v38
	s_delay_alu instid0(VALU_DEP_1) | instskip(SKIP_3) | instid1(VALU_DEP_1)
	v_add_nc_u32_e32 v40, v24, v39
	ds_load_2addr_b32 v[23:24], v12 offset0:19 offset1:20
	s_waitcnt lgkmcnt(3)
	v_add_nc_u32_e32 v41, v25, v40
	v_add_nc_u32_e32 v42, v26, v41
	s_waitcnt lgkmcnt(2)
	s_delay_alu instid0(VALU_DEP_1) | instskip(NEXT) | instid1(VALU_DEP_1)
	v_add_nc_u32_e32 v43, v27, v42
	v_add_nc_u32_e32 v44, v28, v43
	ds_load_2addr_b32 v[25:26], v12 offset0:21 offset1:22
	ds_load_2addr_b32 v[27:28], v12 offset0:23 offset1:24
	s_waitcnt lgkmcnt(3)
	v_add_nc_u32_e32 v45, v21, v44
	s_delay_alu instid0(VALU_DEP_1) | instskip(SKIP_3) | instid1(VALU_DEP_1)
	v_add_nc_u32_e32 v46, v22, v45
	ds_load_2addr_b32 v[21:22], v12 offset0:25 offset1:26
	s_waitcnt lgkmcnt(3)
	v_add_nc_u32_e32 v47, v23, v46
	v_add_nc_u32_e32 v48, v24, v47
	ds_load_2addr_b32 v[23:24], v12 offset0:27 offset1:28
	s_waitcnt lgkmcnt(3)
	v_add_nc_u32_e32 v49, v25, v48
	s_delay_alu instid0(VALU_DEP_1)
	v_add_nc_u32_e32 v50, v26, v49
	ds_load_2addr_b32 v[25:26], v12 offset0:29 offset1:30
	ds_load_b32 v51, v12 offset:124
	ds_store_2addr_b32 v12, v29, v30 offset0:1 offset1:2
	ds_store_2addr_b32 v12, v31, v32 offset0:3 offset1:4
	;; [unrolled: 1-line block ×8, first 2 shown]
	s_waitcnt lgkmcnt(12)
	v_add_nc_u32_e32 v27, v27, v50
	s_delay_alu instid0(VALU_DEP_1) | instskip(SKIP_1) | instid1(VALU_DEP_1)
	v_add_nc_u32_e32 v28, v28, v27
	s_waitcnt lgkmcnt(11)
	v_add_nc_u32_e32 v21, v21, v28
	s_delay_alu instid0(VALU_DEP_1) | instskip(SKIP_1) | instid1(VALU_DEP_1)
	v_add_nc_u32_e32 v22, v22, v21
	;; [unrolled: 4-line block ×4, first 2 shown]
	s_waitcnt lgkmcnt(8)
	v_add_nc_u32_e32 v29, v51, v26
	ds_store_2addr_b32 v12, v45, v46 offset0:17 offset1:18
	ds_store_2addr_b32 v12, v47, v48 offset0:19 offset1:20
	ds_store_2addr_b32 v12, v49, v50 offset0:21 offset1:22
	ds_store_2addr_b32 v12, v27, v28 offset0:23 offset1:24
	ds_store_2addr_b32 v12, v21, v22 offset0:25 offset1:26
	ds_store_2addr_b32 v12, v23, v24 offset0:27 offset1:28
	ds_store_2addr_b32 v12, v25, v26 offset0:29 offset1:30
	ds_store_b32 v12, v29 offset:124
.LBB3_123:                              ;   in Loop: Header=BB3_12 Depth=1
	s_or_b32 exec_lo, exec_lo, s20
	v_mov_b32_e32 v21, v20
	s_waitcnt lgkmcnt(0)
	s_barrier
	buffer_gl0_inv
	s_and_saveexec_b32 s20, s2
	s_cbranch_execz .LBB3_125
; %bb.124:                              ;   in Loop: Header=BB3_12 Depth=1
	ds_load_b32 v21, v13
.LBB3_125:                              ;   in Loop: Header=BB3_12 Depth=1
	s_or_b32 exec_lo, exec_lo, s20
	s_and_saveexec_b32 s20, s2
	s_cbranch_execz .LBB3_127
; %bb.126:                              ;   in Loop: Header=BB3_12 Depth=1
	s_waitcnt lgkmcnt(0)
	v_add_nc_u32_e32 v5, v21, v5
	;;#ASMSTART
	;;#ASMEND
	s_delay_alu instid0(VALU_DEP_1)
	v_add_nc_u32_e32 v20, v5, v6
.LBB3_127:                              ;   in Loop: Header=BB3_12 Depth=1
	s_or_b32 exec_lo, exec_lo, s20
	s_waitcnt lgkmcnt(0)
	s_barrier
	buffer_gl0_inv
	ds_store_2addr_b32 v9, v5, v20 offset1:1
	s_waitcnt lgkmcnt(0)
	s_barrier
	buffer_gl0_inv
	ds_load_b32 v5, v7
	ds_load_b32 v6, v8 offset:4096
	s_and_b32 s20, s22, exec_lo
	s_cselect_b32 s20, 3, 0
	s_waitcnt lgkmcnt(1)
	flat_store_b32 v[1:2], v5 dlc
	s_waitcnt_vscnt null, 0x0
	s_waitcnt lgkmcnt(1)
	flat_store_b32 v[3:4], v6 dlc
	s_waitcnt_vscnt null, 0x0
	s_waitcnt lgkmcnt(0)
	s_barrier
	buffer_gl0_inv
	ds_load_b32 v1, v10 offset:12
	s_add_i32 s20, s20, s36
	v_lshl_add_u32 v2, s1, 2, v15
	s_mul_i32 s20, s20, -11
	v_mov_b32_e32 v3, v0
	s_max_i32 s21, s20, 0xffffffeb
	s_mov_b32 s20, 0
	s_add_i32 s21, s21, 21
	s_set_inst_prefetch_distance 0x1
	s_branch .LBB3_129
	.p2align	6
.LBB3_128:                              ;   in Loop: Header=BB3_129 Depth=2
	s_or_b32 exec_lo, exec_lo, s1
	v_add_nc_u32_e32 v3, s29, v3
	v_add_nc_u32_e32 v2, s37, v2
	s_delay_alu instid0(VALU_DEP_2) | instskip(SKIP_1) | instid1(SALU_CYCLE_1)
	v_cmp_lt_u32_e32 vcc_lo, 0x7ff, v3
	s_or_b32 s20, vcc_lo, s20
	s_and_not1_b32 exec_lo, exec_lo, s20
	s_cbranch_execz .LBB3_133
.LBB3_129:                              ;   Parent Loop BB3_12 Depth=1
                                        ; =>  This Inner Loop Header: Depth=2
	v_mov_b32_e32 v4, 0
	s_mov_b32 s1, exec_lo
	v_cmpx_ne_u32_e32 0, v3
	s_cbranch_execz .LBB3_131
; %bb.130:                              ;   in Loop: Header=BB3_129 Depth=2
	ds_load_b32 v4, v2
.LBB3_131:                              ;   in Loop: Header=BB3_129 Depth=2
	s_or_b32 exec_lo, exec_lo, s1
	ds_load_b32 v5, v2 offset:4
	s_waitcnt lgkmcnt(1)
	v_cmp_gt_i32_e32 vcc_lo, s38, v4
	s_waitcnt lgkmcnt(0)
	v_cmp_le_i32_e64 s1, s38, v5
	s_delay_alu instid0(VALU_DEP_1) | instskip(NEXT) | instid1(SALU_CYCLE_1)
	s_and_b32 s23, vcc_lo, s1
	s_and_saveexec_b32 s1, s23
	s_cbranch_execz .LBB3_128
; %bb.132:                              ;   in Loop: Header=BB3_129 Depth=2
	v_sub_nc_u32_e32 v20, s38, v4
	v_sub_nc_u32_e32 v21, v5, v4
	v_lshl_or_b32 v1, v3, s21, v1
	ds_store_b64 v10, v[20:21]
	ds_store_b32 v10, v1 offset:12
	s_branch .LBB3_128
.LBB3_133:                              ;   in Loop: Header=BB3_12 Depth=1
	s_set_inst_prefetch_distance 0x2
	s_or_b32 exec_lo, exec_lo, s20
	s_and_saveexec_b32 s1, s3
	s_cbranch_execz .LBB3_135
; %bb.134:                              ;   in Loop: Header=BB3_12 Depth=1
	v_mov_b32_e32 v1, s31
	ds_store_b32 v10, v1 offset:8
.LBB3_135:                              ;   in Loop: Header=BB3_12 Depth=1
	s_or_b32 exec_lo, exec_lo, s1
	s_cmp_lg_u32 s36, 2
	s_waitcnt lgkmcnt(0)
	s_cselect_b32 s1, -1, 0
	s_xor_b32 s20, s22, -1
	s_barrier
	s_and_b32 s20, s1, s20
	s_mov_b32 s1, -1
	s_and_b32 vcc_lo, exec_lo, s20
	s_mov_b32 s20, -1
	buffer_gl0_inv
                                        ; implicit-def: $vgpr1
	s_cbranch_vccz .LBB3_11
; %bb.136:                              ;   in Loop: Header=BB3_12 Depth=1
	ds_load_b64 v[1:2], v10
	s_add_i32 s36, s36, 1
	s_mov_b32 s1, 0
	s_waitcnt lgkmcnt(0)
	v_cmp_eq_u32_e64 s20, v2, v1
	s_branch .LBB3_11
.LBB3_137:
	s_and_not1_b32 vcc_lo, exec_lo, s1
	s_mov_b32 s0, -1
	s_cbranch_vccz .LBB3_177
; %bb.138:
	v_mov_b32_e32 v2, 0
	s_cmp_eq_u64 s[8:9], 0
	s_cselect_b32 s10, s30, s31
	s_cselect_b32 s3, s7, s34
	ds_load_b32 v6, v2 offset:12
	v_cmp_gt_i32_e64 s0, s10, v0
	s_cselect_b32 s2, s6, s33
	s_cselect_b32 s1, s5, s9
	;; [unrolled: 1-line block ×3, first 2 shown]
	s_cmp_eq_u64 s[2:3], 0
	s_cbranch_scc1 .LBB3_157
; %bb.139:
	s_and_saveexec_b32 s12, s0
	s_cbranch_execz .LBB3_156
; %bb.140:
	v_dual_mov_b32 v7, 0 :: v_dual_mov_b32 v2, v0
	s_lshl_b32 s13, -1, s18
	s_mov_b32 s14, 0
	s_branch .LBB3_142
.LBB3_141:                              ;   in Loop: Header=BB3_142 Depth=1
	s_or_b32 exec_lo, exec_lo, s15
	v_add_nc_u32_e32 v2, s29, v2
	s_delay_alu instid0(VALU_DEP_1) | instskip(SKIP_1) | instid1(SALU_CYCLE_1)
	v_cmp_le_i32_e32 vcc_lo, s10, v2
	s_or_b32 s14, vcc_lo, s14
	s_and_not1_b32 exec_lo, exec_lo, s14
	s_cbranch_execz .LBB3_156
.LBB3_142:                              ; =>This Inner Loop Header: Depth=1
	s_delay_alu instid0(VALU_DEP_1) | instskip(SKIP_2) | instid1(VALU_DEP_1)
	v_ashrrev_i32_e32 v3, 31, v2
	s_mov_b32 s16, 0
	s_mov_b32 s15, exec_lo
	v_lshlrev_b64 v[4:5], 2, v[2:3]
	s_waitcnt vmcnt(0) lgkmcnt(0)
	s_delay_alu instid0(VALU_DEP_1) | instskip(NEXT) | instid1(VALU_DEP_2)
	v_add_co_u32 v8, vcc_lo, s11, v4
	v_add_co_ci_u32_e32 v9, vcc_lo, s1, v5, vcc_lo
	flat_load_b32 v3, v[8:9]
	s_waitcnt vmcnt(0) lgkmcnt(0)
	v_cmp_gt_f32_e32 vcc_lo, 0, v3
	v_cndmask_b32_e64 v8, 0x7fffffff, 0, vcc_lo
	s_delay_alu instid0(VALU_DEP_1) | instskip(NEXT) | instid1(VALU_DEP_1)
	v_xor_b32_e32 v3, v8, v3
                                        ; implicit-def: $vgpr8
	v_and_b32_e32 v9, s13, v3
                                        ; implicit-def: $vgpr3
	s_delay_alu instid0(VALU_DEP_1)
	v_cmpx_ge_u32_e64 v9, v6
	s_xor_b32 s15, exec_lo, s15
	s_cbranch_execnz .LBB3_145
; %bb.143:                              ;   in Loop: Header=BB3_142 Depth=1
	s_and_not1_saveexec_b32 s15, s15
	s_cbranch_execnz .LBB3_152
.LBB3_144:                              ;   in Loop: Header=BB3_142 Depth=1
	s_or_b32 exec_lo, exec_lo, s15
	s_and_saveexec_b32 s15, s16
	s_cbranch_execz .LBB3_141
	s_branch .LBB3_155
.LBB3_145:                              ;   in Loop: Header=BB3_142 Depth=1
	s_mov_b32 s17, 0
	s_mov_b32 s16, exec_lo
                                        ; implicit-def: $vgpr8
                                        ; implicit-def: $vgpr3
	v_cmpx_eq_u32_e64 v9, v6
	s_cbranch_execz .LBB3_151
; %bb.146:                              ;   in Loop: Header=BB3_142 Depth=1
	v_add_co_u32 v3, vcc_lo, s2, v4
	v_add_co_ci_u32_e32 v4, vcc_lo, s3, v5, vcc_lo
	s_mov_b32 s17, exec_lo
	s_mov_b32 s19, exec_lo
	flat_load_b32 v8, v[3:4]
	v_mbcnt_lo_u32_b32 v3, s17, 0
                                        ; implicit-def: $vgpr4
	s_delay_alu instid0(VALU_DEP_1)
	v_cmpx_eq_u32_e32 0, v3
	s_cbranch_execz .LBB3_148
; %bb.147:                              ;   in Loop: Header=BB3_142 Depth=1
	s_bcnt1_i32_b32 s17, s17
	s_delay_alu instid0(SALU_CYCLE_1)
	v_mov_b32_e32 v4, s17
	ds_add_rtn_u32 v4, v7, v4 offset:512
.LBB3_148:                              ;   in Loop: Header=BB3_142 Depth=1
	s_or_b32 exec_lo, exec_lo, s19
	s_waitcnt lgkmcnt(0)
	v_readfirstlane_b32 s17, v4
	s_mov_b32 s19, exec_lo
	s_delay_alu instid0(VALU_DEP_1) | instskip(SKIP_1) | instid1(VALU_DEP_1)
	v_add_nc_u32_e32 v4, s17, v3
	s_mov_b32 s17, 0
                                        ; implicit-def: $vgpr3
	v_cmpx_lt_i32_e64 v4, v1
	s_xor_b32 s19, exec_lo, s19
; %bb.149:                              ;   in Loop: Header=BB3_142 Depth=1
	v_xad_u32 v3, v4, -1, s26
	s_mov_b32 s17, exec_lo
; %bb.150:                              ;   in Loop: Header=BB3_142 Depth=1
	s_or_b32 exec_lo, exec_lo, s19
	s_delay_alu instid0(SALU_CYCLE_1)
	s_and_b32 s17, s17, exec_lo
.LBB3_151:                              ;   in Loop: Header=BB3_142 Depth=1
	s_or_b32 exec_lo, exec_lo, s16
	s_delay_alu instid0(SALU_CYCLE_1)
	s_and_b32 s16, s17, exec_lo
                                        ; implicit-def: $vgpr4_vgpr5
	s_and_not1_saveexec_b32 s15, s15
	s_cbranch_execz .LBB3_144
.LBB3_152:                              ;   in Loop: Header=BB3_142 Depth=1
	s_mov_b32 s19, exec_lo
	s_mov_b32 s17, exec_lo
	v_mbcnt_lo_u32_b32 v3, s19, 0
                                        ; implicit-def: $vgpr9
	s_delay_alu instid0(VALU_DEP_1)
	v_cmpx_eq_u32_e32 0, v3
	s_cbranch_execz .LBB3_154
; %bb.153:                              ;   in Loop: Header=BB3_142 Depth=1
	s_bcnt1_i32_b32 s19, s19
	s_waitcnt vmcnt(0)
	v_mov_b32_e32 v8, s19
	ds_add_rtn_u32 v9, v7, v8 offset:384
.LBB3_154:                              ;   in Loop: Header=BB3_142 Depth=1
	s_or_b32 exec_lo, exec_lo, s17
	v_add_co_u32 v4, vcc_lo, s2, v4
	v_add_co_ci_u32_e32 v5, vcc_lo, s3, v5, vcc_lo
	s_waitcnt lgkmcnt(0)
	v_readfirstlane_b32 s17, v9
	s_or_b32 s16, s16, exec_lo
	s_waitcnt vmcnt(0)
	flat_load_b32 v8, v[4:5]
	v_add_nc_u32_e32 v3, s17, v3
	s_or_b32 exec_lo, exec_lo, s15
	s_and_saveexec_b32 s15, s16
	s_cbranch_execz .LBB3_141
.LBB3_155:                              ;   in Loop: Header=BB3_142 Depth=1
	s_delay_alu instid0(VALU_DEP_1) | instskip(NEXT) | instid1(VALU_DEP_1)
	v_ashrrev_i32_e32 v4, 31, v3
	v_lshlrev_b64 v[3:4], 2, v[3:4]
	s_delay_alu instid0(VALU_DEP_1) | instskip(NEXT) | instid1(VALU_DEP_2)
	v_add_co_u32 v3, vcc_lo, s27, v3
	v_add_co_ci_u32_e32 v4, vcc_lo, s28, v4, vcc_lo
	s_waitcnt vmcnt(0) lgkmcnt(0)
	global_store_b32 v[3:4], v8, off
	s_branch .LBB3_141
.LBB3_156:
	s_or_b32 exec_lo, exec_lo, s12
	s_cbranch_execz .LBB3_158
	s_branch .LBB3_176
.LBB3_157:
.LBB3_158:
	s_and_saveexec_b32 s2, s0
	s_cbranch_execz .LBB3_175
; %bb.159:
	v_dual_mov_b32 v5, 0 :: v_dual_mov_b32 v2, v0
	s_lshl_b32 s0, -1, s18
	s_mov_b32 s3, 0
	s_branch .LBB3_161
.LBB3_160:                              ;   in Loop: Header=BB3_161 Depth=1
	s_or_b32 exec_lo, exec_lo, s12
	v_add_nc_u32_e32 v2, s29, v2
	s_delay_alu instid0(VALU_DEP_1) | instskip(SKIP_1) | instid1(SALU_CYCLE_1)
	v_cmp_le_i32_e32 vcc_lo, s10, v2
	s_or_b32 s3, vcc_lo, s3
	s_and_not1_b32 exec_lo, exec_lo, s3
	s_cbranch_execz .LBB3_175
.LBB3_161:                              ; =>This Inner Loop Header: Depth=1
	s_delay_alu instid0(VALU_DEP_1) | instskip(SKIP_2) | instid1(VALU_DEP_1)
	v_ashrrev_i32_e32 v3, 31, v2
	s_mov_b32 s13, 0
	s_mov_b32 s12, exec_lo
	v_lshlrev_b64 v[3:4], 2, v[2:3]
	s_delay_alu instid0(VALU_DEP_1) | instskip(NEXT) | instid1(VALU_DEP_2)
	v_add_co_u32 v3, vcc_lo, s11, v3
	v_add_co_ci_u32_e32 v4, vcc_lo, s1, v4, vcc_lo
	flat_load_b32 v3, v[3:4]
	s_waitcnt vmcnt(0) lgkmcnt(0)
	v_cmp_gt_f32_e32 vcc_lo, 0, v3
	v_cndmask_b32_e64 v4, 0x7fffffff, 0, vcc_lo
	s_delay_alu instid0(VALU_DEP_1) | instskip(NEXT) | instid1(VALU_DEP_1)
	v_xor_b32_e32 v3, v4, v3
	v_and_b32_e32 v4, s0, v3
                                        ; implicit-def: $vgpr3
	s_delay_alu instid0(VALU_DEP_1)
	v_cmpx_ge_u32_e64 v4, v6
	s_xor_b32 s12, exec_lo, s12
	s_cbranch_execnz .LBB3_164
; %bb.162:                              ;   in Loop: Header=BB3_161 Depth=1
	s_and_not1_saveexec_b32 s12, s12
	s_cbranch_execnz .LBB3_171
.LBB3_163:                              ;   in Loop: Header=BB3_161 Depth=1
	s_or_b32 exec_lo, exec_lo, s12
	s_and_saveexec_b32 s12, s13
	s_cbranch_execz .LBB3_160
	s_branch .LBB3_174
.LBB3_164:                              ;   in Loop: Header=BB3_161 Depth=1
	s_mov_b32 s14, 0
	s_mov_b32 s13, exec_lo
                                        ; implicit-def: $vgpr3
	v_cmpx_eq_u32_e64 v4, v6
	s_cbranch_execz .LBB3_170
; %bb.165:                              ;   in Loop: Header=BB3_161 Depth=1
	s_mov_b32 s15, exec_lo
	s_mov_b32 s14, exec_lo
	v_mbcnt_lo_u32_b32 v3, s15, 0
                                        ; implicit-def: $vgpr4
	s_delay_alu instid0(VALU_DEP_1)
	v_cmpx_eq_u32_e32 0, v3
	s_cbranch_execz .LBB3_167
; %bb.166:                              ;   in Loop: Header=BB3_161 Depth=1
	s_bcnt1_i32_b32 s15, s15
	s_delay_alu instid0(SALU_CYCLE_1)
	v_mov_b32_e32 v4, s15
	ds_add_rtn_u32 v4, v5, v4 offset:512
.LBB3_167:                              ;   in Loop: Header=BB3_161 Depth=1
	s_or_b32 exec_lo, exec_lo, s14
	s_waitcnt lgkmcnt(0)
	v_readfirstlane_b32 s14, v4
	s_mov_b32 s15, exec_lo
	s_delay_alu instid0(VALU_DEP_1) | instskip(SKIP_1) | instid1(VALU_DEP_1)
	v_add_nc_u32_e32 v4, s14, v3
	s_mov_b32 s14, 0
                                        ; implicit-def: $vgpr3
	v_cmpx_lt_i32_e64 v4, v1
	s_xor_b32 s15, exec_lo, s15
; %bb.168:                              ;   in Loop: Header=BB3_161 Depth=1
	v_xad_u32 v3, v4, -1, s26
	s_mov_b32 s14, exec_lo
; %bb.169:                              ;   in Loop: Header=BB3_161 Depth=1
	s_or_b32 exec_lo, exec_lo, s15
	s_delay_alu instid0(SALU_CYCLE_1)
	s_and_b32 s14, s14, exec_lo
.LBB3_170:                              ;   in Loop: Header=BB3_161 Depth=1
	s_or_b32 exec_lo, exec_lo, s13
	s_delay_alu instid0(SALU_CYCLE_1)
	s_and_b32 s13, s14, exec_lo
	s_and_not1_saveexec_b32 s12, s12
	s_cbranch_execz .LBB3_163
.LBB3_171:                              ;   in Loop: Header=BB3_161 Depth=1
	s_mov_b32 s15, exec_lo
	s_mov_b32 s14, exec_lo
	v_mbcnt_lo_u32_b32 v3, s15, 0
                                        ; implicit-def: $vgpr4
	s_delay_alu instid0(VALU_DEP_1)
	v_cmpx_eq_u32_e32 0, v3
	s_cbranch_execz .LBB3_173
; %bb.172:                              ;   in Loop: Header=BB3_161 Depth=1
	s_bcnt1_i32_b32 s15, s15
	s_delay_alu instid0(SALU_CYCLE_1)
	v_mov_b32_e32 v4, s15
	ds_add_rtn_u32 v4, v5, v4 offset:384
.LBB3_173:                              ;   in Loop: Header=BB3_161 Depth=1
	s_or_b32 exec_lo, exec_lo, s14
	s_waitcnt lgkmcnt(0)
	v_readfirstlane_b32 s14, v4
	s_or_b32 s13, s13, exec_lo
	s_delay_alu instid0(VALU_DEP_1)
	v_add_nc_u32_e32 v3, s14, v3
	s_or_b32 exec_lo, exec_lo, s12
	s_and_saveexec_b32 s12, s13
	s_cbranch_execz .LBB3_160
.LBB3_174:                              ;   in Loop: Header=BB3_161 Depth=1
	s_delay_alu instid0(VALU_DEP_1) | instskip(NEXT) | instid1(VALU_DEP_1)
	v_ashrrev_i32_e32 v4, 31, v3
	v_lshlrev_b64 v[3:4], 2, v[3:4]
	s_delay_alu instid0(VALU_DEP_1) | instskip(NEXT) | instid1(VALU_DEP_2)
	v_add_co_u32 v3, vcc_lo, s27, v3
	v_add_co_ci_u32_e32 v4, vcc_lo, s28, v4, vcc_lo
	global_store_b32 v[3:4], v2, off
	s_branch .LBB3_160
.LBB3_175:
	s_or_b32 exec_lo, exec_lo, s2
.LBB3_176:
	s_mov_b32 s0, 0
.LBB3_177:
	s_delay_alu instid0(SALU_CYCLE_1)
	s_and_not1_b32 vcc_lo, exec_lo, s0
	s_cbranch_vccnz .LBB3_223
; %bb.178:
	v_mov_b32_e32 v1, 0
	s_xor_b32 s10, s22, -1
	s_cmp_eq_u64 s[8:9], 0
	s_cselect_b32 s3, s7, s34
	ds_load_2addr_b32 v[2:3], v1 offset1:3
	s_cselect_b32 s7, s30, s31
	s_cselect_b32 s2, s6, s33
	v_cmp_gt_i32_e64 s0, s7, v0
	s_cselect_b32 s5, s5, s9
	s_cselect_b32 s4, s4, s8
	s_cmp_eq_u64 s[2:3], 0
	s_cbranch_scc1 .LBB3_201
; %bb.179:
	s_and_saveexec_b32 s6, s0
	s_cbranch_execz .LBB3_200
; %bb.180:
	v_dual_mov_b32 v1, 0 :: v_dual_mov_b32 v4, v0
	s_lshl_b32 s8, -1, s18
	s_mov_b32 s9, 0
	s_branch .LBB3_182
.LBB3_181:                              ;   in Loop: Header=BB3_182 Depth=1
	s_or_b32 exec_lo, exec_lo, s1
	v_add_nc_u32_e32 v4, s29, v4
	s_delay_alu instid0(VALU_DEP_1) | instskip(SKIP_1) | instid1(SALU_CYCLE_1)
	v_cmp_le_i32_e32 vcc_lo, s7, v4
	s_or_b32 s9, vcc_lo, s9
	s_and_not1_b32 exec_lo, exec_lo, s9
	s_cbranch_execz .LBB3_200
.LBB3_182:                              ; =>This Inner Loop Header: Depth=1
	s_delay_alu instid0(VALU_DEP_1) | instskip(SKIP_2) | instid1(VALU_DEP_1)
	v_ashrrev_i32_e32 v5, 31, v4
	s_mov_b32 s11, -1
	s_waitcnt lgkmcnt(1)
	v_lshlrev_b64 v[5:6], 2, v[4:5]
	s_delay_alu instid0(VALU_DEP_1) | instskip(SKIP_1) | instid1(VALU_DEP_2)
	v_add_co_u32 v7, vcc_lo, s4, v5
	s_waitcnt vmcnt(0)
	v_add_co_ci_u32_e32 v8, vcc_lo, s5, v6, vcc_lo
	s_and_b32 vcc_lo, exec_lo, s10
	flat_load_b32 v7, v[7:8]
                                        ; implicit-def: $vgpr8
	s_waitcnt vmcnt(0) lgkmcnt(0)
	v_cmp_gt_f32_e64 s1, 0, v7
	s_cbranch_vccz .LBB3_184
; %bb.183:                              ;   in Loop: Header=BB3_182 Depth=1
	s_delay_alu instid0(VALU_DEP_1) | instskip(SKIP_1) | instid1(VALU_DEP_1)
	v_cndmask_b32_e64 v8, 0x7fffffff, 0, s1
	s_mov_b32 s11, 0
	v_xor_b32_e32 v8, v8, v7
	s_delay_alu instid0(VALU_DEP_1)
	v_and_b32_e32 v8, s8, v8
.LBB3_184:                              ;   in Loop: Header=BB3_182 Depth=1
	s_and_not1_b32 vcc_lo, exec_lo, s11
	s_cbranch_vccnz .LBB3_186
; %bb.185:                              ;   in Loop: Header=BB3_182 Depth=1
	s_delay_alu instid0(VALU_DEP_1) | instskip(SKIP_1) | instid1(VALU_DEP_1)
	v_cndmask_b32_e64 v8, 0x7ff, 0, s1
	v_and_b32_e32 v7, 0x7ff, v7
	v_xor_b32_e32 v8, v8, v7
.LBB3_186:                              ;   in Loop: Header=BB3_182 Depth=1
	s_mov_b32 s11, 0
	s_mov_b32 s1, exec_lo
                                        ; implicit-def: $vgpr9
                                        ; implicit-def: $vgpr7
	s_delay_alu instid0(VALU_DEP_1)
	v_cmpx_ge_u32_e64 v8, v3
	s_xor_b32 s1, exec_lo, s1
	s_cbranch_execnz .LBB3_189
; %bb.187:                              ;   in Loop: Header=BB3_182 Depth=1
	s_and_not1_saveexec_b32 s1, s1
	s_cbranch_execnz .LBB3_196
.LBB3_188:                              ;   in Loop: Header=BB3_182 Depth=1
	s_or_b32 exec_lo, exec_lo, s1
	s_and_saveexec_b32 s1, s11
	s_cbranch_execz .LBB3_181
	s_branch .LBB3_199
.LBB3_189:                              ;   in Loop: Header=BB3_182 Depth=1
	s_mov_b32 s12, 0
	s_mov_b32 s11, exec_lo
                                        ; implicit-def: $vgpr9
                                        ; implicit-def: $vgpr7
	v_cmpx_eq_u32_e64 v8, v3
	s_cbranch_execz .LBB3_195
; %bb.190:                              ;   in Loop: Header=BB3_182 Depth=1
	v_add_co_u32 v5, vcc_lo, s2, v5
	v_add_co_ci_u32_e32 v6, vcc_lo, s3, v6, vcc_lo
	s_mov_b32 s12, exec_lo
	s_mov_b32 s13, exec_lo
	flat_load_b32 v9, v[5:6]
	v_mbcnt_lo_u32_b32 v5, s12, 0
                                        ; implicit-def: $vgpr6
	s_delay_alu instid0(VALU_DEP_1)
	v_cmpx_eq_u32_e32 0, v5
	s_cbranch_execz .LBB3_192
; %bb.191:                              ;   in Loop: Header=BB3_182 Depth=1
	s_bcnt1_i32_b32 s12, s12
	s_delay_alu instid0(SALU_CYCLE_1)
	v_mov_b32_e32 v6, s12
	ds_add_rtn_u32 v6, v1, v6 offset:512
.LBB3_192:                              ;   in Loop: Header=BB3_182 Depth=1
	s_or_b32 exec_lo, exec_lo, s13
	s_waitcnt lgkmcnt(0)
	v_readfirstlane_b32 s12, v6
	s_mov_b32 s13, exec_lo
                                        ; implicit-def: $vgpr7
	s_delay_alu instid0(VALU_DEP_1) | instskip(SKIP_1) | instid1(VALU_DEP_1)
	v_add_nc_u32_e32 v5, s12, v5
	s_mov_b32 s12, 0
	v_cmpx_lt_i32_e64 v5, v2
	s_xor_b32 s13, exec_lo, s13
; %bb.193:                              ;   in Loop: Header=BB3_182 Depth=1
	v_xad_u32 v7, v5, -1, s26
	s_mov_b32 s12, exec_lo
; %bb.194:                              ;   in Loop: Header=BB3_182 Depth=1
	s_or_b32 exec_lo, exec_lo, s13
	s_delay_alu instid0(SALU_CYCLE_1)
	s_and_b32 s12, s12, exec_lo
.LBB3_195:                              ;   in Loop: Header=BB3_182 Depth=1
	s_or_b32 exec_lo, exec_lo, s11
	s_delay_alu instid0(SALU_CYCLE_1)
	s_and_b32 s11, s12, exec_lo
                                        ; implicit-def: $vgpr5_vgpr6
	s_and_not1_saveexec_b32 s1, s1
	s_cbranch_execz .LBB3_188
.LBB3_196:                              ;   in Loop: Header=BB3_182 Depth=1
	s_mov_b32 s13, exec_lo
	s_mov_b32 s12, exec_lo
	v_mbcnt_lo_u32_b32 v7, s13, 0
                                        ; implicit-def: $vgpr8
	s_delay_alu instid0(VALU_DEP_1)
	v_cmpx_eq_u32_e32 0, v7
	s_cbranch_execz .LBB3_198
; %bb.197:                              ;   in Loop: Header=BB3_182 Depth=1
	s_bcnt1_i32_b32 s13, s13
	s_delay_alu instid0(SALU_CYCLE_1)
	v_mov_b32_e32 v8, s13
	ds_add_rtn_u32 v8, v1, v8 offset:384
.LBB3_198:                              ;   in Loop: Header=BB3_182 Depth=1
	s_or_b32 exec_lo, exec_lo, s12
	v_add_co_u32 v5, vcc_lo, s2, v5
	v_add_co_ci_u32_e32 v6, vcc_lo, s3, v6, vcc_lo
	s_waitcnt lgkmcnt(0)
	v_readfirstlane_b32 s12, v8
	s_or_b32 s11, s11, exec_lo
	s_waitcnt vmcnt(0)
	flat_load_b32 v9, v[5:6]
	v_add_nc_u32_e32 v7, s12, v7
	s_or_b32 exec_lo, exec_lo, s1
	s_and_saveexec_b32 s1, s11
	s_cbranch_execz .LBB3_181
.LBB3_199:                              ;   in Loop: Header=BB3_182 Depth=1
	s_delay_alu instid0(VALU_DEP_1) | instskip(NEXT) | instid1(VALU_DEP_1)
	v_ashrrev_i32_e32 v8, 31, v7
	v_lshlrev_b64 v[5:6], 2, v[7:8]
	s_delay_alu instid0(VALU_DEP_1) | instskip(NEXT) | instid1(VALU_DEP_2)
	v_add_co_u32 v5, vcc_lo, s27, v5
	v_add_co_ci_u32_e32 v6, vcc_lo, s28, v6, vcc_lo
	s_waitcnt vmcnt(0) lgkmcnt(0)
	global_store_b32 v[5:6], v9, off
	s_branch .LBB3_181
.LBB3_200:
	s_or_b32 exec_lo, exec_lo, s6
	s_cbranch_execz .LBB3_202
	s_branch .LBB3_223
.LBB3_201:
.LBB3_202:
	s_and_saveexec_b32 s1, s0
	s_cbranch_execz .LBB3_223
; %bb.203:
	s_waitcnt lgkmcnt(1)
	v_mov_b32_e32 v6, 0
	s_lshl_b32 s1, -1, s18
	s_mov_b32 s2, 0
	s_branch .LBB3_205
.LBB3_204:                              ;   in Loop: Header=BB3_205 Depth=1
	s_or_b32 exec_lo, exec_lo, s0
	v_add_nc_u32_e32 v0, s29, v0
	s_delay_alu instid0(VALU_DEP_1) | instskip(SKIP_1) | instid1(SALU_CYCLE_1)
	v_cmp_le_i32_e32 vcc_lo, s7, v0
	s_or_b32 s2, vcc_lo, s2
	s_and_not1_b32 exec_lo, exec_lo, s2
	s_cbranch_execz .LBB3_223
.LBB3_205:                              ; =>This Inner Loop Header: Depth=1
	v_ashrrev_i32_e32 v1, 31, v0
	s_mov_b32 s3, -1
	s_delay_alu instid0(VALU_DEP_1) | instskip(NEXT) | instid1(VALU_DEP_1)
	v_lshlrev_b64 v[4:5], 2, v[0:1]
                                        ; implicit-def: $vgpr1
	v_add_co_u32 v4, vcc_lo, s4, v4
	s_delay_alu instid0(VALU_DEP_2)
	v_add_co_ci_u32_e32 v5, vcc_lo, s5, v5, vcc_lo
	s_and_b32 vcc_lo, exec_lo, s10
	flat_load_b32 v4, v[4:5]
	s_waitcnt vmcnt(0) lgkmcnt(0)
	v_cmp_gt_f32_e64 s0, 0, v4
	s_cbranch_vccz .LBB3_207
; %bb.206:                              ;   in Loop: Header=BB3_205 Depth=1
	s_delay_alu instid0(VALU_DEP_1) | instskip(SKIP_1) | instid1(VALU_DEP_1)
	v_cndmask_b32_e64 v1, 0x7fffffff, 0, s0
	s_mov_b32 s3, 0
	v_xor_b32_e32 v1, v1, v4
	s_delay_alu instid0(VALU_DEP_1)
	v_and_b32_e32 v1, s1, v1
.LBB3_207:                              ;   in Loop: Header=BB3_205 Depth=1
	s_and_not1_b32 vcc_lo, exec_lo, s3
	s_cbranch_vccnz .LBB3_209
; %bb.208:                              ;   in Loop: Header=BB3_205 Depth=1
	s_delay_alu instid0(VALU_DEP_1) | instskip(SKIP_1) | instid1(VALU_DEP_1)
	v_cndmask_b32_e64 v1, 0x7ff, 0, s0
	v_and_b32_e32 v4, 0x7ff, v4
	v_xor_b32_e32 v1, v1, v4
.LBB3_209:                              ;   in Loop: Header=BB3_205 Depth=1
	s_mov_b32 s3, 0
	s_mov_b32 s0, exec_lo
                                        ; implicit-def: $vgpr4
	s_delay_alu instid0(VALU_DEP_1)
	v_cmpx_ge_u32_e64 v1, v3
	s_xor_b32 s0, exec_lo, s0
	s_cbranch_execnz .LBB3_212
; %bb.210:                              ;   in Loop: Header=BB3_205 Depth=1
	s_and_not1_saveexec_b32 s0, s0
	s_cbranch_execnz .LBB3_219
.LBB3_211:                              ;   in Loop: Header=BB3_205 Depth=1
	s_or_b32 exec_lo, exec_lo, s0
	s_and_saveexec_b32 s0, s3
	s_cbranch_execz .LBB3_204
	s_branch .LBB3_222
.LBB3_212:                              ;   in Loop: Header=BB3_205 Depth=1
	s_mov_b32 s6, 0
	s_mov_b32 s3, exec_lo
                                        ; implicit-def: $vgpr4
	v_cmpx_eq_u32_e64 v1, v3
	s_cbranch_execz .LBB3_218
; %bb.213:                              ;   in Loop: Header=BB3_205 Depth=1
	s_mov_b32 s8, exec_lo
	s_mov_b32 s6, exec_lo
	v_mbcnt_lo_u32_b32 v1, s8, 0
                                        ; implicit-def: $vgpr4
	s_delay_alu instid0(VALU_DEP_1)
	v_cmpx_eq_u32_e32 0, v1
	s_cbranch_execz .LBB3_215
; %bb.214:                              ;   in Loop: Header=BB3_205 Depth=1
	s_bcnt1_i32_b32 s8, s8
	s_delay_alu instid0(SALU_CYCLE_1)
	v_mov_b32_e32 v4, s8
	ds_add_rtn_u32 v4, v6, v4 offset:512
.LBB3_215:                              ;   in Loop: Header=BB3_205 Depth=1
	s_or_b32 exec_lo, exec_lo, s6
	s_waitcnt lgkmcnt(0)
	v_readfirstlane_b32 s6, v4
	s_mov_b32 s8, exec_lo
                                        ; implicit-def: $vgpr4
	s_delay_alu instid0(VALU_DEP_1) | instskip(SKIP_1) | instid1(VALU_DEP_1)
	v_add_nc_u32_e32 v1, s6, v1
	s_mov_b32 s6, 0
	v_cmpx_lt_i32_e64 v1, v2
	s_xor_b32 s8, exec_lo, s8
; %bb.216:                              ;   in Loop: Header=BB3_205 Depth=1
	v_xad_u32 v4, v1, -1, s26
	s_mov_b32 s6, exec_lo
; %bb.217:                              ;   in Loop: Header=BB3_205 Depth=1
	s_or_b32 exec_lo, exec_lo, s8
	s_delay_alu instid0(SALU_CYCLE_1)
	s_and_b32 s6, s6, exec_lo
.LBB3_218:                              ;   in Loop: Header=BB3_205 Depth=1
	s_or_b32 exec_lo, exec_lo, s3
	s_delay_alu instid0(SALU_CYCLE_1)
	s_and_b32 s3, s6, exec_lo
	s_and_not1_saveexec_b32 s0, s0
	s_cbranch_execz .LBB3_211
.LBB3_219:                              ;   in Loop: Header=BB3_205 Depth=1
	s_mov_b32 s8, exec_lo
	s_mov_b32 s6, exec_lo
	v_mbcnt_lo_u32_b32 v1, s8, 0
                                        ; implicit-def: $vgpr4
	s_delay_alu instid0(VALU_DEP_1)
	v_cmpx_eq_u32_e32 0, v1
	s_cbranch_execz .LBB3_221
; %bb.220:                              ;   in Loop: Header=BB3_205 Depth=1
	s_bcnt1_i32_b32 s8, s8
	s_delay_alu instid0(SALU_CYCLE_1)
	v_mov_b32_e32 v4, s8
	ds_add_rtn_u32 v4, v6, v4 offset:384
.LBB3_221:                              ;   in Loop: Header=BB3_205 Depth=1
	s_or_b32 exec_lo, exec_lo, s6
	s_waitcnt lgkmcnt(0)
	v_readfirstlane_b32 s6, v4
	s_or_b32 s3, s3, exec_lo
	s_delay_alu instid0(VALU_DEP_1)
	v_add_nc_u32_e32 v4, s6, v1
	s_or_b32 exec_lo, exec_lo, s0
	s_and_saveexec_b32 s0, s3
	s_cbranch_execz .LBB3_204
.LBB3_222:                              ;   in Loop: Header=BB3_205 Depth=1
	s_delay_alu instid0(VALU_DEP_1) | instskip(NEXT) | instid1(VALU_DEP_1)
	v_ashrrev_i32_e32 v5, 31, v4
	v_lshlrev_b64 v[4:5], 2, v[4:5]
	s_delay_alu instid0(VALU_DEP_1) | instskip(NEXT) | instid1(VALU_DEP_2)
	v_add_co_u32 v4, vcc_lo, s27, v4
	v_add_co_ci_u32_e32 v5, vcc_lo, s28, v5, vcc_lo
	global_store_b32 v[4:5], v0, off
	s_branch .LBB3_204
.LBB3_223:
	s_nop 0
	s_sendmsg sendmsg(MSG_DEALLOC_VGPRS)
	s_endpgm
	.section	.rodata,"a",@progbits
	.p2align	6, 0x0
	.amdhsa_kernel _Z27radix_topk_one_block_kernelIfiLi11ELi1024ELb0ELb0EL5Phase0EEvPKT_PKT0_lS6_S6_S4_PS1_PS4_bPci
		.amdhsa_group_segment_fixed_size 25604
		.amdhsa_private_segment_fixed_size 0
		.amdhsa_kernarg_size 344
		.amdhsa_user_sgpr_count 15
		.amdhsa_user_sgpr_dispatch_ptr 0
		.amdhsa_user_sgpr_queue_ptr 0
		.amdhsa_user_sgpr_kernarg_segment_ptr 1
		.amdhsa_user_sgpr_dispatch_id 0
		.amdhsa_user_sgpr_private_segment_size 0
		.amdhsa_wavefront_size32 1
		.amdhsa_uses_dynamic_stack 0
		.amdhsa_enable_private_segment 0
		.amdhsa_system_sgpr_workgroup_id_x 1
		.amdhsa_system_sgpr_workgroup_id_y 0
		.amdhsa_system_sgpr_workgroup_id_z 0
		.amdhsa_system_sgpr_workgroup_info 0
		.amdhsa_system_vgpr_workitem_id 0
		.amdhsa_next_free_vgpr 52
		.amdhsa_next_free_sgpr 47
		.amdhsa_reserve_vcc 1
		.amdhsa_float_round_mode_32 0
		.amdhsa_float_round_mode_16_64 0
		.amdhsa_float_denorm_mode_32 3
		.amdhsa_float_denorm_mode_16_64 3
		.amdhsa_dx10_clamp 1
		.amdhsa_ieee_mode 1
		.amdhsa_fp16_overflow 0
		.amdhsa_workgroup_processor_mode 1
		.amdhsa_memory_ordered 1
		.amdhsa_forward_progress 0
		.amdhsa_shared_vgpr_count 0
		.amdhsa_exception_fp_ieee_invalid_op 0
		.amdhsa_exception_fp_denorm_src 0
		.amdhsa_exception_fp_ieee_div_zero 0
		.amdhsa_exception_fp_ieee_overflow 0
		.amdhsa_exception_fp_ieee_underflow 0
		.amdhsa_exception_fp_ieee_inexact 0
		.amdhsa_exception_int_div_zero 0
	.end_amdhsa_kernel
	.section	.text._Z27radix_topk_one_block_kernelIfiLi11ELi1024ELb0ELb0EL5Phase0EEvPKT_PKT0_lS6_S6_S4_PS1_PS4_bPci,"axG",@progbits,_Z27radix_topk_one_block_kernelIfiLi11ELi1024ELb0ELb0EL5Phase0EEvPKT_PKT0_lS6_S6_S4_PS1_PS4_bPci,comdat
.Lfunc_end3:
	.size	_Z27radix_topk_one_block_kernelIfiLi11ELi1024ELb0ELb0EL5Phase0EEvPKT_PKT0_lS6_S6_S4_PS1_PS4_bPci, .Lfunc_end3-_Z27radix_topk_one_block_kernelIfiLi11ELi1024ELb0ELb0EL5Phase0EEvPKT_PKT0_lS6_S6_S4_PS1_PS4_bPci
                                        ; -- End function
	.section	.AMDGPU.csdata,"",@progbits
; Kernel info:
; codeLenInByte = 8356
; NumSgprs: 49
; NumVgprs: 52
; ScratchSize: 0
; MemoryBound: 0
; FloatMode: 240
; IeeeMode: 1
; LDSByteSize: 25604 bytes/workgroup (compile time only)
; SGPRBlocks: 6
; VGPRBlocks: 6
; NumSGPRsForWavesPerEU: 49
; NumVGPRsForWavesPerEU: 52
; Occupancy: 16
; WaveLimiterHint : 0
; COMPUTE_PGM_RSRC2:SCRATCH_EN: 0
; COMPUTE_PGM_RSRC2:USER_SGPR: 15
; COMPUTE_PGM_RSRC2:TRAP_HANDLER: 0
; COMPUTE_PGM_RSRC2:TGID_X_EN: 1
; COMPUTE_PGM_RSRC2:TGID_Y_EN: 0
; COMPUTE_PGM_RSRC2:TGID_Z_EN: 0
; COMPUTE_PGM_RSRC2:TIDIG_COMP_CNT: 0
	.text
	.p2alignl 7, 3214868480
	.fill 96, 4, 3214868480
	.type	__hip_cuid_4b336e75b9e385a5,@object ; @__hip_cuid_4b336e75b9e385a5
	.section	.bss,"aw",@nobits
	.globl	__hip_cuid_4b336e75b9e385a5
__hip_cuid_4b336e75b9e385a5:
	.byte	0                               ; 0x0
	.size	__hip_cuid_4b336e75b9e385a5, 1

	.ident	"AMD clang version 19.0.0git (https://github.com/RadeonOpenCompute/llvm-project roc-6.4.0 25133 c7fe45cf4b819c5991fe208aaa96edf142730f1d)"
	.section	".note.GNU-stack","",@progbits
	.addrsig
	.addrsig_sym __hip_cuid_4b336e75b9e385a5
	.amdgpu_metadata
---
amdhsa.kernels:
  - .args:
      - .address_space:  global
        .offset:         0
        .size:           8
        .value_kind:     global_buffer
      - .offset:         8
        .size:           4
        .value_kind:     by_value
      - .offset:         12
        .size:           4
        .value_kind:     by_value
      - .offset:         16
        .size:           4
        .value_kind:     hidden_block_count_x
      - .offset:         20
        .size:           4
        .value_kind:     hidden_block_count_y
      - .offset:         24
        .size:           4
        .value_kind:     hidden_block_count_z
      - .offset:         28
        .size:           2
        .value_kind:     hidden_group_size_x
      - .offset:         30
        .size:           2
        .value_kind:     hidden_group_size_y
      - .offset:         32
        .size:           2
        .value_kind:     hidden_group_size_z
      - .offset:         34
        .size:           2
        .value_kind:     hidden_remainder_x
      - .offset:         36
        .size:           2
        .value_kind:     hidden_remainder_y
      - .offset:         38
        .size:           2
        .value_kind:     hidden_remainder_z
      - .offset:         56
        .size:           8
        .value_kind:     hidden_global_offset_x
      - .offset:         64
        .size:           8
        .value_kind:     hidden_global_offset_y
      - .offset:         72
        .size:           8
        .value_kind:     hidden_global_offset_z
      - .offset:         80
        .size:           2
        .value_kind:     hidden_grid_dims
    .group_segment_fixed_size: 0
    .kernarg_segment_align: 8
    .kernarg_segment_size: 272
    .language:       OpenCL C
    .language_version:
      - 2
      - 0
    .max_flat_workgroup_size: 1024
    .name:           _Z6init_xPfii
    .private_segment_fixed_size: 0
    .sgpr_count:     18
    .sgpr_spill_count: 0
    .symbol:         _Z6init_xPfii.kd
    .uniform_work_group_size: 1
    .uses_dynamic_stack: false
    .vgpr_count:     4
    .vgpr_spill_count: 0
    .wavefront_size: 32
    .workgroup_processor_mode: 1
  - .args:
      - .address_space:  global
        .offset:         0
        .size:           8
        .value_kind:     global_buffer
      - .offset:         8
        .size:           4
        .value_kind:     by_value
      - .offset:         12
        .size:           4
        .value_kind:     by_value
      - .offset:         16
        .size:           4
        .value_kind:     by_value
    .group_segment_fixed_size: 0
    .kernarg_segment_align: 8
    .kernarg_segment_size: 20
    .language:       OpenCL C
    .language_version:
      - 2
      - 0
    .max_flat_workgroup_size: 1024
    .name:           _Z12shuffle_rowsPfiij
    .private_segment_fixed_size: 0
    .sgpr_count:     16
    .sgpr_spill_count: 0
    .symbol:         _Z12shuffle_rowsPfiij.kd
    .uniform_work_group_size: 1
    .uses_dynamic_stack: false
    .vgpr_count:     3
    .vgpr_spill_count: 0
    .wavefront_size: 32
    .workgroup_processor_mode: 1
  - .args:
      - .address_space:  global
        .offset:         0
        .size:           8
        .value_kind:     global_buffer
      - .address_space:  global
        .offset:         8
        .size:           8
        .value_kind:     global_buffer
      - .offset:         16
        .size:           8
        .value_kind:     by_value
      - .address_space:  global
        .offset:         24
        .size:           8
        .value_kind:     global_buffer
      - .address_space:  global
        .offset:         32
        .size:           8
        .value_kind:     global_buffer
      - .offset:         40
        .size:           4
        .value_kind:     by_value
      - .address_space:  global
        .offset:         48
        .size:           8
        .value_kind:     global_buffer
      - .address_space:  global
        .offset:         56
        .size:           8
        .value_kind:     global_buffer
      - .offset:         64
        .size:           1
        .value_kind:     by_value
      - .address_space:  global
        .offset:         72
        .size:           8
        .value_kind:     global_buffer
      - .offset:         80
        .size:           4
        .value_kind:     by_value
      - .offset:         88
        .size:           4
        .value_kind:     hidden_block_count_x
      - .offset:         92
        .size:           4
        .value_kind:     hidden_block_count_y
      - .offset:         96
        .size:           4
        .value_kind:     hidden_block_count_z
      - .offset:         100
        .size:           2
        .value_kind:     hidden_group_size_x
      - .offset:         102
        .size:           2
        .value_kind:     hidden_group_size_y
      - .offset:         104
        .size:           2
        .value_kind:     hidden_group_size_z
      - .offset:         106
        .size:           2
        .value_kind:     hidden_remainder_x
      - .offset:         108
        .size:           2
        .value_kind:     hidden_remainder_y
      - .offset:         110
        .size:           2
        .value_kind:     hidden_remainder_z
      - .offset:         128
        .size:           8
        .value_kind:     hidden_global_offset_x
      - .offset:         136
        .size:           8
        .value_kind:     hidden_global_offset_y
      - .offset:         144
        .size:           8
        .value_kind:     hidden_global_offset_z
      - .offset:         152
        .size:           2
        .value_kind:     hidden_grid_dims
    .group_segment_fixed_size: 25604
    .kernarg_segment_align: 8
    .kernarg_segment_size: 344
    .language:       OpenCL C
    .language_version:
      - 2
      - 0
    .max_flat_workgroup_size: 1024
    .name:           _Z27radix_topk_one_block_kernelIfiLi11ELi1024ELb1ELb0EL5Phase0EEvPKT_PKT0_lS6_S6_S4_PS1_PS4_bPci
    .private_segment_fixed_size: 0
    .sgpr_count:     51
    .sgpr_spill_count: 0
    .symbol:         _Z27radix_topk_one_block_kernelIfiLi11ELi1024ELb1ELb0EL5Phase0EEvPKT_PKT0_lS6_S6_S4_PS1_PS4_bPci.kd
    .uniform_work_group_size: 1
    .uses_dynamic_stack: false
    .vgpr_count:     52
    .vgpr_spill_count: 0
    .wavefront_size: 32
    .workgroup_processor_mode: 1
  - .args:
      - .address_space:  global
        .offset:         0
        .size:           8
        .value_kind:     global_buffer
      - .address_space:  global
        .offset:         8
        .size:           8
        .value_kind:     global_buffer
      - .offset:         16
        .size:           8
        .value_kind:     by_value
      - .address_space:  global
        .offset:         24
        .size:           8
        .value_kind:     global_buffer
      - .address_space:  global
        .offset:         32
        .size:           8
        .value_kind:     global_buffer
      - .offset:         40
        .size:           4
        .value_kind:     by_value
      - .address_space:  global
        .offset:         48
        .size:           8
        .value_kind:     global_buffer
      - .address_space:  global
        .offset:         56
        .size:           8
        .value_kind:     global_buffer
      - .offset:         64
        .size:           1
        .value_kind:     by_value
      - .address_space:  global
        .offset:         72
        .size:           8
        .value_kind:     global_buffer
      - .offset:         80
        .size:           4
        .value_kind:     by_value
      - .offset:         88
        .size:           4
        .value_kind:     hidden_block_count_x
      - .offset:         92
        .size:           4
        .value_kind:     hidden_block_count_y
      - .offset:         96
        .size:           4
        .value_kind:     hidden_block_count_z
      - .offset:         100
        .size:           2
        .value_kind:     hidden_group_size_x
      - .offset:         102
        .size:           2
        .value_kind:     hidden_group_size_y
      - .offset:         104
        .size:           2
        .value_kind:     hidden_group_size_z
      - .offset:         106
        .size:           2
        .value_kind:     hidden_remainder_x
      - .offset:         108
        .size:           2
        .value_kind:     hidden_remainder_y
      - .offset:         110
        .size:           2
        .value_kind:     hidden_remainder_z
      - .offset:         128
        .size:           8
        .value_kind:     hidden_global_offset_x
      - .offset:         136
        .size:           8
        .value_kind:     hidden_global_offset_y
      - .offset:         144
        .size:           8
        .value_kind:     hidden_global_offset_z
      - .offset:         152
        .size:           2
        .value_kind:     hidden_grid_dims
    .group_segment_fixed_size: 25604
    .kernarg_segment_align: 8
    .kernarg_segment_size: 344
    .language:       OpenCL C
    .language_version:
      - 2
      - 0
    .max_flat_workgroup_size: 1024
    .name:           _Z27radix_topk_one_block_kernelIfiLi11ELi1024ELb0ELb0EL5Phase0EEvPKT_PKT0_lS6_S6_S4_PS1_PS4_bPci
    .private_segment_fixed_size: 0
    .sgpr_count:     49
    .sgpr_spill_count: 0
    .symbol:         _Z27radix_topk_one_block_kernelIfiLi11ELi1024ELb0ELb0EL5Phase0EEvPKT_PKT0_lS6_S6_S4_PS1_PS4_bPci.kd
    .uniform_work_group_size: 1
    .uses_dynamic_stack: false
    .vgpr_count:     52
    .vgpr_spill_count: 0
    .wavefront_size: 32
    .workgroup_processor_mode: 1
amdhsa.target:   amdgcn-amd-amdhsa--gfx1100
amdhsa.version:
  - 1
  - 2
...

	.end_amdgpu_metadata
